;; amdgpu-corpus repo=ROCm/rocFFT kind=compiled arch=gfx1201 opt=O3
	.text
	.amdgcn_target "amdgcn-amd-amdhsa--gfx1201"
	.amdhsa_code_object_version 6
	.protected	fft_rtc_back_len1925_factors_7_11_5_5_wgs_55_tpt_55_halfLds_sp_op_CI_CI_sbrr_dirReg ; -- Begin function fft_rtc_back_len1925_factors_7_11_5_5_wgs_55_tpt_55_halfLds_sp_op_CI_CI_sbrr_dirReg
	.globl	fft_rtc_back_len1925_factors_7_11_5_5_wgs_55_tpt_55_halfLds_sp_op_CI_CI_sbrr_dirReg
	.p2align	8
	.type	fft_rtc_back_len1925_factors_7_11_5_5_wgs_55_tpt_55_halfLds_sp_op_CI_CI_sbrr_dirReg,@function
fft_rtc_back_len1925_factors_7_11_5_5_wgs_55_tpt_55_halfLds_sp_op_CI_CI_sbrr_dirReg: ; @fft_rtc_back_len1925_factors_7_11_5_5_wgs_55_tpt_55_halfLds_sp_op_CI_CI_sbrr_dirReg
; %bb.0:
	s_clause 0x2
	s_load_b128 s[12:15], s[0:1], 0x18
	s_load_b128 s[8:11], s[0:1], 0x0
	;; [unrolled: 1-line block ×3, first 2 shown]
	v_mul_u32_u24_e32 v1, 0x4a8, v0
	v_mov_b32_e32 v4, 0
	v_mov_b32_e32 v2, 0
	;; [unrolled: 1-line block ×3, first 2 shown]
	s_wait_kmcnt 0x0
	s_load_b64 s[18:19], s[12:13], 0x0
	s_load_b64 s[16:17], s[14:15], 0x0
	v_lshrrev_b32_e32 v1, 16, v1
	v_cmp_lt_u64_e64 s2, s[10:11], 2
	s_delay_alu instid0(VALU_DEP_2) | instskip(NEXT) | instid1(VALU_DEP_2)
	v_dual_mov_b32 v7, v4 :: v_dual_add_nc_u32 v6, ttmp9, v1
	s_and_b32 vcc_lo, exec_lo, s2
	s_cbranch_vccnz .LBB0_8
; %bb.1:
	s_load_b64 s[2:3], s[0:1], 0x10
	v_mov_b32_e32 v2, 0
	v_mov_b32_e32 v3, 0
	s_add_nc_u64 s[20:21], s[14:15], 8
	s_add_nc_u64 s[22:23], s[12:13], 8
	s_mov_b64 s[24:25], 1
	s_delay_alu instid0(VALU_DEP_1)
	v_dual_mov_b32 v41, v3 :: v_dual_mov_b32 v40, v2
	s_wait_kmcnt 0x0
	s_add_nc_u64 s[26:27], s[2:3], 8
	s_mov_b32 s3, 0
.LBB0_2:                                ; =>This Inner Loop Header: Depth=1
	s_load_b64 s[28:29], s[26:27], 0x0
                                        ; implicit-def: $vgpr42_vgpr43
	s_mov_b32 s2, exec_lo
	s_wait_kmcnt 0x0
	v_or_b32_e32 v5, s29, v7
	s_delay_alu instid0(VALU_DEP_1)
	v_cmpx_ne_u64_e32 0, v[4:5]
	s_wait_alu 0xfffe
	s_xor_b32 s30, exec_lo, s2
	s_cbranch_execz .LBB0_4
; %bb.3:                                ;   in Loop: Header=BB0_2 Depth=1
	s_cvt_f32_u32 s2, s28
	s_cvt_f32_u32 s31, s29
	s_sub_nc_u64 s[36:37], 0, s[28:29]
	s_wait_alu 0xfffe
	s_delay_alu instid0(SALU_CYCLE_1) | instskip(SKIP_1) | instid1(SALU_CYCLE_2)
	s_fmamk_f32 s2, s31, 0x4f800000, s2
	s_wait_alu 0xfffe
	v_s_rcp_f32 s2, s2
	s_delay_alu instid0(TRANS32_DEP_1) | instskip(SKIP_1) | instid1(SALU_CYCLE_2)
	s_mul_f32 s2, s2, 0x5f7ffffc
	s_wait_alu 0xfffe
	s_mul_f32 s31, s2, 0x2f800000
	s_wait_alu 0xfffe
	s_delay_alu instid0(SALU_CYCLE_2) | instskip(SKIP_1) | instid1(SALU_CYCLE_2)
	s_trunc_f32 s31, s31
	s_wait_alu 0xfffe
	s_fmamk_f32 s2, s31, 0xcf800000, s2
	s_cvt_u32_f32 s35, s31
	s_wait_alu 0xfffe
	s_delay_alu instid0(SALU_CYCLE_1) | instskip(SKIP_1) | instid1(SALU_CYCLE_2)
	s_cvt_u32_f32 s34, s2
	s_wait_alu 0xfffe
	s_mul_u64 s[38:39], s[36:37], s[34:35]
	s_wait_alu 0xfffe
	s_mul_hi_u32 s41, s34, s39
	s_mul_i32 s40, s34, s39
	s_mul_hi_u32 s2, s34, s38
	s_mul_i32 s33, s35, s38
	s_wait_alu 0xfffe
	s_add_nc_u64 s[40:41], s[2:3], s[40:41]
	s_mul_hi_u32 s31, s35, s38
	s_mul_hi_u32 s42, s35, s39
	s_add_co_u32 s2, s40, s33
	s_wait_alu 0xfffe
	s_add_co_ci_u32 s2, s41, s31
	s_mul_i32 s38, s35, s39
	s_add_co_ci_u32 s39, s42, 0
	s_wait_alu 0xfffe
	s_add_nc_u64 s[38:39], s[2:3], s[38:39]
	s_wait_alu 0xfffe
	v_add_co_u32 v1, s2, s34, s38
	s_delay_alu instid0(VALU_DEP_1) | instskip(SKIP_1) | instid1(VALU_DEP_1)
	s_cmp_lg_u32 s2, 0
	s_add_co_ci_u32 s35, s35, s39
	v_readfirstlane_b32 s34, v1
	s_wait_alu 0xfffe
	s_delay_alu instid0(VALU_DEP_1)
	s_mul_u64 s[36:37], s[36:37], s[34:35]
	s_wait_alu 0xfffe
	s_mul_hi_u32 s39, s34, s37
	s_mul_i32 s38, s34, s37
	s_mul_hi_u32 s2, s34, s36
	s_mul_i32 s33, s35, s36
	s_wait_alu 0xfffe
	s_add_nc_u64 s[38:39], s[2:3], s[38:39]
	s_mul_hi_u32 s31, s35, s36
	s_mul_hi_u32 s34, s35, s37
	s_wait_alu 0xfffe
	s_add_co_u32 s2, s38, s33
	s_add_co_ci_u32 s2, s39, s31
	s_mul_i32 s36, s35, s37
	s_add_co_ci_u32 s37, s34, 0
	s_wait_alu 0xfffe
	s_add_nc_u64 s[36:37], s[2:3], s[36:37]
	s_wait_alu 0xfffe
	v_add_co_u32 v1, s2, v1, s36
	s_delay_alu instid0(VALU_DEP_1) | instskip(SKIP_1) | instid1(VALU_DEP_1)
	s_cmp_lg_u32 s2, 0
	s_add_co_ci_u32 s2, s35, s37
	v_mul_hi_u32 v5, v6, v1
	s_wait_alu 0xfffe
	v_mad_co_u64_u32 v[8:9], null, v6, s2, 0
	v_mad_co_u64_u32 v[10:11], null, v7, v1, 0
	;; [unrolled: 1-line block ×3, first 2 shown]
	s_delay_alu instid0(VALU_DEP_3) | instskip(SKIP_1) | instid1(VALU_DEP_4)
	v_add_co_u32 v1, vcc_lo, v5, v8
	s_wait_alu 0xfffd
	v_add_co_ci_u32_e32 v5, vcc_lo, 0, v9, vcc_lo
	s_delay_alu instid0(VALU_DEP_2) | instskip(SKIP_1) | instid1(VALU_DEP_2)
	v_add_co_u32 v1, vcc_lo, v1, v10
	s_wait_alu 0xfffd
	v_add_co_ci_u32_e32 v1, vcc_lo, v5, v11, vcc_lo
	s_wait_alu 0xfffd
	v_add_co_ci_u32_e32 v5, vcc_lo, 0, v13, vcc_lo
	s_delay_alu instid0(VALU_DEP_2) | instskip(SKIP_1) | instid1(VALU_DEP_2)
	v_add_co_u32 v1, vcc_lo, v1, v12
	s_wait_alu 0xfffd
	v_add_co_ci_u32_e32 v5, vcc_lo, 0, v5, vcc_lo
	s_delay_alu instid0(VALU_DEP_2) | instskip(SKIP_1) | instid1(VALU_DEP_3)
	v_mul_lo_u32 v10, s29, v1
	v_mad_co_u64_u32 v[8:9], null, s28, v1, 0
	v_mul_lo_u32 v11, s28, v5
	s_delay_alu instid0(VALU_DEP_2) | instskip(NEXT) | instid1(VALU_DEP_2)
	v_sub_co_u32 v8, vcc_lo, v6, v8
	v_add3_u32 v9, v9, v11, v10
	s_delay_alu instid0(VALU_DEP_1) | instskip(SKIP_1) | instid1(VALU_DEP_1)
	v_sub_nc_u32_e32 v10, v7, v9
	s_wait_alu 0xfffd
	v_subrev_co_ci_u32_e64 v10, s2, s29, v10, vcc_lo
	v_add_co_u32 v11, s2, v1, 2
	s_wait_alu 0xf1ff
	v_add_co_ci_u32_e64 v12, s2, 0, v5, s2
	v_sub_co_u32 v13, s2, v8, s28
	v_sub_co_ci_u32_e32 v9, vcc_lo, v7, v9, vcc_lo
	s_wait_alu 0xf1ff
	v_subrev_co_ci_u32_e64 v10, s2, 0, v10, s2
	s_delay_alu instid0(VALU_DEP_3) | instskip(NEXT) | instid1(VALU_DEP_3)
	v_cmp_le_u32_e32 vcc_lo, s28, v13
	v_cmp_eq_u32_e64 s2, s29, v9
	s_wait_alu 0xfffd
	v_cndmask_b32_e64 v13, 0, -1, vcc_lo
	v_cmp_le_u32_e32 vcc_lo, s29, v10
	s_wait_alu 0xfffd
	v_cndmask_b32_e64 v14, 0, -1, vcc_lo
	v_cmp_le_u32_e32 vcc_lo, s28, v8
	;; [unrolled: 3-line block ×3, first 2 shown]
	s_wait_alu 0xfffd
	v_cndmask_b32_e64 v15, 0, -1, vcc_lo
	v_cmp_eq_u32_e32 vcc_lo, s29, v10
	s_wait_alu 0xf1ff
	s_delay_alu instid0(VALU_DEP_2)
	v_cndmask_b32_e64 v8, v15, v8, s2
	s_wait_alu 0xfffd
	v_cndmask_b32_e32 v10, v14, v13, vcc_lo
	v_add_co_u32 v13, vcc_lo, v1, 1
	s_wait_alu 0xfffd
	v_add_co_ci_u32_e32 v14, vcc_lo, 0, v5, vcc_lo
	s_delay_alu instid0(VALU_DEP_3) | instskip(SKIP_1) | instid1(VALU_DEP_2)
	v_cmp_ne_u32_e32 vcc_lo, 0, v10
	s_wait_alu 0xfffd
	v_dual_cndmask_b32 v9, v14, v12 :: v_dual_cndmask_b32 v10, v13, v11
	v_cmp_ne_u32_e32 vcc_lo, 0, v8
	s_wait_alu 0xfffd
	s_delay_alu instid0(VALU_DEP_2) | instskip(NEXT) | instid1(VALU_DEP_3)
	v_cndmask_b32_e32 v43, v5, v9, vcc_lo
	v_cndmask_b32_e32 v42, v1, v10, vcc_lo
.LBB0_4:                                ;   in Loop: Header=BB0_2 Depth=1
	s_wait_alu 0xfffe
	s_and_not1_saveexec_b32 s2, s30
	s_cbranch_execz .LBB0_6
; %bb.5:                                ;   in Loop: Header=BB0_2 Depth=1
	v_cvt_f32_u32_e32 v1, s28
	s_sub_co_i32 s30, 0, s28
	v_mov_b32_e32 v43, v4
	s_delay_alu instid0(VALU_DEP_2) | instskip(NEXT) | instid1(TRANS32_DEP_1)
	v_rcp_iflag_f32_e32 v1, v1
	v_mul_f32_e32 v1, 0x4f7ffffe, v1
	s_delay_alu instid0(VALU_DEP_1) | instskip(SKIP_1) | instid1(VALU_DEP_1)
	v_cvt_u32_f32_e32 v1, v1
	s_wait_alu 0xfffe
	v_mul_lo_u32 v5, s30, v1
	s_delay_alu instid0(VALU_DEP_1) | instskip(NEXT) | instid1(VALU_DEP_1)
	v_mul_hi_u32 v5, v1, v5
	v_add_nc_u32_e32 v1, v1, v5
	s_delay_alu instid0(VALU_DEP_1) | instskip(NEXT) | instid1(VALU_DEP_1)
	v_mul_hi_u32 v1, v6, v1
	v_mul_lo_u32 v5, v1, s28
	v_add_nc_u32_e32 v8, 1, v1
	s_delay_alu instid0(VALU_DEP_2) | instskip(NEXT) | instid1(VALU_DEP_1)
	v_sub_nc_u32_e32 v5, v6, v5
	v_subrev_nc_u32_e32 v9, s28, v5
	v_cmp_le_u32_e32 vcc_lo, s28, v5
	s_wait_alu 0xfffd
	s_delay_alu instid0(VALU_DEP_2) | instskip(SKIP_1) | instid1(VALU_DEP_2)
	v_cndmask_b32_e32 v5, v5, v9, vcc_lo
	v_cndmask_b32_e32 v1, v1, v8, vcc_lo
	v_cmp_le_u32_e32 vcc_lo, s28, v5
	s_delay_alu instid0(VALU_DEP_2) | instskip(SKIP_1) | instid1(VALU_DEP_1)
	v_add_nc_u32_e32 v8, 1, v1
	s_wait_alu 0xfffd
	v_cndmask_b32_e32 v42, v1, v8, vcc_lo
.LBB0_6:                                ;   in Loop: Header=BB0_2 Depth=1
	s_wait_alu 0xfffe
	s_or_b32 exec_lo, exec_lo, s2
	v_mul_lo_u32 v1, v43, s28
	s_delay_alu instid0(VALU_DEP_2)
	v_mul_lo_u32 v5, v42, s29
	s_load_b64 s[30:31], s[22:23], 0x0
	v_mad_co_u64_u32 v[8:9], null, v42, s28, 0
	s_load_b64 s[28:29], s[20:21], 0x0
	s_add_nc_u64 s[24:25], s[24:25], 1
	s_add_nc_u64 s[20:21], s[20:21], 8
	s_wait_alu 0xfffe
	v_cmp_ge_u64_e64 s2, s[24:25], s[10:11]
	s_add_nc_u64 s[22:23], s[22:23], 8
	s_add_nc_u64 s[26:27], s[26:27], 8
	v_add3_u32 v1, v9, v5, v1
	v_sub_co_u32 v5, vcc_lo, v6, v8
	s_wait_alu 0xfffd
	s_delay_alu instid0(VALU_DEP_2) | instskip(SKIP_2) | instid1(VALU_DEP_1)
	v_sub_co_ci_u32_e32 v1, vcc_lo, v7, v1, vcc_lo
	s_and_b32 vcc_lo, exec_lo, s2
	s_wait_kmcnt 0x0
	v_mul_lo_u32 v6, s30, v1
	v_mul_lo_u32 v7, s31, v5
	v_mad_co_u64_u32 v[2:3], null, s30, v5, v[2:3]
	v_mul_lo_u32 v1, s28, v1
	v_mul_lo_u32 v8, s29, v5
	v_mad_co_u64_u32 v[40:41], null, s28, v5, v[40:41]
	s_delay_alu instid0(VALU_DEP_4) | instskip(NEXT) | instid1(VALU_DEP_2)
	v_add3_u32 v3, v7, v3, v6
	v_add3_u32 v41, v8, v41, v1
	s_wait_alu 0xfffe
	s_cbranch_vccnz .LBB0_9
; %bb.7:                                ;   in Loop: Header=BB0_2 Depth=1
	v_dual_mov_b32 v6, v42 :: v_dual_mov_b32 v7, v43
	s_branch .LBB0_2
.LBB0_8:
	v_dual_mov_b32 v41, v3 :: v_dual_mov_b32 v40, v2
	s_delay_alu instid0(VALU_DEP_2)
	v_dual_mov_b32 v43, v7 :: v_dual_mov_b32 v42, v6
.LBB0_9:
	s_load_b64 s[0:1], s[0:1], 0x28
	v_mul_hi_u32 v14, 0x4a7904b, v0
	s_lshl_b64 s[10:11], s[10:11], 3
                                        ; implicit-def: $sgpr2_sgpr3
                                        ; implicit-def: $vgpr114
                                        ; implicit-def: $vgpr115
                                        ; implicit-def: $vgpr116
                                        ; implicit-def: $vgpr117
                                        ; implicit-def: $vgpr118
	s_wait_kmcnt 0x0
	v_cmp_gt_u64_e32 vcc_lo, s[0:1], v[42:43]
	v_cmp_le_u64_e64 s0, s[0:1], v[42:43]
	s_delay_alu instid0(VALU_DEP_1)
	s_and_saveexec_b32 s1, s0
	s_wait_alu 0xfffe
	s_xor_b32 s0, exec_lo, s1
; %bb.10:
	v_mul_u32_u24_e32 v1, 55, v14
	s_mov_b64 s[2:3], 0
                                        ; implicit-def: $vgpr14
                                        ; implicit-def: $vgpr2_vgpr3
	s_delay_alu instid0(VALU_DEP_1) | instskip(NEXT) | instid1(VALU_DEP_1)
	v_sub_nc_u32_e32 v114, v0, v1
                                        ; implicit-def: $vgpr0
	v_add_nc_u32_e32 v115, 55, v114
	v_add_nc_u32_e32 v116, 0x6e, v114
	;; [unrolled: 1-line block ×4, first 2 shown]
; %bb.11:
	s_wait_alu 0xfffe
	s_or_saveexec_b32 s1, s0
	v_dual_mov_b32 v5, s3 :: v_dual_mov_b32 v4, s2
	v_dual_mov_b32 v9, s3 :: v_dual_mov_b32 v8, s2
	;; [unrolled: 1-line block ×20, first 2 shown]
	s_add_nc_u64 s[2:3], s[14:15], s[10:11]
                                        ; implicit-def: $vgpr1
                                        ; implicit-def: $vgpr15
                                        ; implicit-def: $vgpr57
                                        ; implicit-def: $vgpr59
                                        ; implicit-def: $vgpr91
                                        ; implicit-def: $vgpr93
                                        ; implicit-def: $vgpr97
                                        ; implicit-def: $vgpr111
                                        ; implicit-def: $vgpr113
                                        ; implicit-def: $vgpr109
                                        ; implicit-def: $vgpr89
                                        ; implicit-def: $vgpr73
                                        ; implicit-def: $vgpr71
                                        ; implicit-def: $vgpr29
                                        ; implicit-def: $vgpr25
	s_wait_alu 0xfffe
	s_xor_b32 exec_lo, exec_lo, s1
	s_cbranch_execz .LBB0_13
; %bb.12:
	s_add_nc_u64 s[10:11], s[12:13], s[10:11]
	v_mul_u32_u24_e32 v1, 55, v14
	s_load_b64 s[10:11], s[10:11], 0x0
	v_lshlrev_b64_e32 v[2:3], 3, v[2:3]
	s_delay_alu instid0(VALU_DEP_2) | instskip(NEXT) | instid1(VALU_DEP_1)
	v_sub_nc_u32_e32 v114, v0, v1
	v_add_nc_u32_e32 v14, 0x113, v114
	v_add_nc_u32_e32 v15, 0x226, v114
	v_mad_co_u64_u32 v[0:1], null, s18, v114, 0
	v_add_nc_u32_e32 v19, 0x44c, v114
	s_delay_alu instid0(VALU_DEP_4) | instskip(NEXT) | instid1(VALU_DEP_4)
	v_mad_co_u64_u32 v[4:5], null, s18, v14, 0
	v_mad_co_u64_u32 v[6:7], null, s18, v15, 0
	v_add_nc_u32_e32 v16, 0x339, v114
	v_mad_co_u64_u32 v[12:13], null, s19, v114, v[1:2]
	s_wait_kmcnt 0x0
	v_mul_lo_u32 v17, s11, v42
	v_mul_lo_u32 v18, s10, v43
	v_mad_co_u64_u32 v[10:11], null, s10, v42, 0
	v_mov_b32_e32 v1, v5
	v_mov_b32_e32 v5, v7
	v_mad_co_u64_u32 v[8:9], null, s18, v16, 0
	v_add_nc_u32_e32 v20, 0x55f, v114
	s_delay_alu instid0(VALU_DEP_4) | instskip(SKIP_4) | instid1(VALU_DEP_4)
	v_mad_co_u64_u32 v[13:14], null, s19, v14, v[1:2]
	v_add3_u32 v11, v11, v18, v17
	v_mad_co_u64_u32 v[14:15], null, s19, v15, v[5:6]
	v_mov_b32_e32 v7, v9
	v_mov_b32_e32 v1, v12
	v_lshlrev_b64_e32 v[9:10], 3, v[10:11]
	v_dual_mov_b32 v5, v13 :: v_dual_add_nc_u32 v30, 0x370, v114
	s_delay_alu instid0(VALU_DEP_4) | instskip(NEXT) | instid1(VALU_DEP_4)
	v_mad_co_u64_u32 v[11:12], null, s19, v16, v[7:8]
	v_lshlrev_b64_e32 v[0:1], 3, v[0:1]
	s_delay_alu instid0(VALU_DEP_4) | instskip(SKIP_3) | instid1(VALU_DEP_3)
	v_add_co_u32 v9, s0, s4, v9
	s_wait_alu 0xf1ff
	v_add_co_ci_u32_e64 v10, s0, s5, v10, s0
	v_mov_b32_e32 v7, v14
	v_add_co_u32 v2, s0, v9, v2
	v_mad_co_u64_u32 v[12:13], null, s18, v19, 0
	s_wait_alu 0xf1ff
	v_add_co_ci_u32_e64 v3, s0, v10, v3, s0
	v_lshlrev_b64_e32 v[4:5], 3, v[4:5]
	v_add_co_u32 v0, s0, v2, v0
	v_lshlrev_b64_e32 v[6:7], 3, v[6:7]
	s_wait_alu 0xf1ff
	v_add_co_ci_u32_e64 v1, s0, v3, v1, s0
	s_delay_alu instid0(VALU_DEP_4)
	v_add_co_u32 v4, s0, v2, v4
	v_dual_mov_b32 v9, v11 :: v_dual_mov_b32 v10, v13
	s_wait_alu 0xf1ff
	v_add_co_ci_u32_e64 v5, s0, v3, v5, s0
	v_add_co_u32 v16, s0, v2, v6
	s_wait_alu 0xf1ff
	v_add_co_ci_u32_e64 v17, s0, v3, v7, s0
	v_lshlrev_b64_e32 v[6:7], 3, v[8:9]
	v_mad_co_u64_u32 v[8:9], null, s19, v19, v[10:11]
	v_add_nc_u32_e32 v31, 0x483, v114
	v_mad_co_u64_u32 v[14:15], null, s18, v20, 0
	v_mad_co_u64_u32 v[26:27], null, s18, v30, 0
	v_add_nc_u32_e32 v23, 0x672, v114
	s_delay_alu instid0(VALU_DEP_4) | instskip(SKIP_2) | instid1(VALU_DEP_4)
	v_mad_co_u64_u32 v[28:29], null, s18, v31, 0
	v_mov_b32_e32 v13, v8
	v_mov_b32_e32 v9, v15
	v_mad_co_u64_u32 v[10:11], null, s18, v23, 0
	v_add_co_u32 v18, s0, v2, v6
	s_delay_alu instid0(VALU_DEP_4)
	v_lshlrev_b64_e32 v[12:13], 3, v[12:13]
	s_wait_alu 0xf1ff
	v_add_co_ci_u32_e64 v19, s0, v3, v7, s0
	v_add_nc_u32_e32 v115, 55, v114
	v_mad_co_u64_u32 v[20:21], null, s19, v20, v[9:10]
	s_clause 0x3
	global_load_b64 v[6:7], v[0:1], off
	global_load_b64 v[4:5], v[4:5], off
	;; [unrolled: 1-line block ×4, first 2 shown]
	v_mad_co_u64_u32 v[16:17], null, s19, v23, v[11:12]
	v_mad_co_u64_u32 v[21:22], null, s18, v115, 0
	v_add_nc_u32_e32 v116, 0x6e, v114
	v_add_nc_u32_e32 v23, 0x14a, v114
	v_dual_mov_b32 v15, v20 :: v_dual_add_nc_u32 v38, 0x6a9, v114
	v_dual_mov_b32 v11, v16 :: v_dual_add_nc_u32 v32, 0x596, v114
	v_mov_b32_e32 v17, v22
	v_mad_co_u64_u32 v[34:35], null, s18, v116, 0
	v_add_nc_u32_e32 v25, 0x25d, v114
	v_lshlrev_b64_e32 v[14:15], 3, v[14:15]
	s_delay_alu instid0(VALU_DEP_4) | instskip(SKIP_1) | instid1(VALU_DEP_4)
	v_mad_co_u64_u32 v[16:17], null, s19, v115, v[17:18]
	v_mad_co_u64_u32 v[17:18], null, s18, v23, 0
	;; [unrolled: 1-line block ×3, first 2 shown]
	v_add_co_u32 v12, s0, v2, v12
	s_delay_alu instid0(VALU_DEP_4)
	v_mov_b32_e32 v22, v16
	v_lshlrev_b64_e32 v[10:11], 3, v[10:11]
	v_mov_b32_e32 v16, v18
	s_wait_alu 0xf1ff
	v_add_co_ci_u32_e64 v13, s0, v3, v13, s0
	v_mov_b32_e32 v18, v20
	v_add_co_u32 v14, s0, v2, v14
	v_mad_co_u64_u32 v[23:24], null, s19, v23, v[16:17]
	s_delay_alu instid0(VALU_DEP_3)
	v_mad_co_u64_u32 v[24:25], null, s19, v25, v[18:19]
	v_lshlrev_b64_e32 v[21:22], 3, v[21:22]
	v_mov_b32_e32 v16, v27
	s_wait_alu 0xf1ff
	v_add_co_ci_u32_e64 v15, s0, v3, v15, s0
	v_mov_b32_e32 v18, v23
	v_add_co_u32 v10, s0, v2, v10
	v_mov_b32_e32 v20, v24
	s_wait_alu 0xf1ff
	v_add_co_ci_u32_e64 v11, s0, v3, v11, s0
	v_mad_co_u64_u32 v[23:24], null, s19, v30, v[16:17]
	s_delay_alu instid0(VALU_DEP_3)
	v_lshlrev_b64_e32 v[19:20], 3, v[19:20]
	v_lshlrev_b64_e32 v[16:17], 3, v[17:18]
	v_mov_b32_e32 v18, v29
	v_add_co_u32 v21, s0, v2, v21
	s_wait_alu 0xf1ff
	v_add_co_ci_u32_e64 v22, s0, v3, v22, s0
	s_clause 0x3
	global_load_b64 v[12:13], v[12:13], off
	global_load_b64 v[14:15], v[14:15], off
	;; [unrolled: 1-line block ×4, first 2 shown]
	v_mad_co_u64_u32 v[21:22], null, s19, v31, v[18:19]
	v_mad_co_u64_u32 v[30:31], null, s18, v32, 0
	v_add_co_u32 v16, s0, v2, v16
	s_wait_alu 0xf1ff
	v_add_co_ci_u32_e64 v17, s0, v3, v17, s0
	v_add_co_u32 v18, s0, v2, v19
	s_wait_alu 0xf1ff
	v_add_co_ci_u32_e64 v19, s0, v3, v20, s0
	v_dual_mov_b32 v20, v31 :: v_dual_mov_b32 v29, v21
	v_dual_mov_b32 v27, v23 :: v_dual_add_nc_u32 v44, 0x181, v114
	v_add_nc_u32_e32 v46, 0x3a7, v114
	s_delay_alu instid0(VALU_DEP_3) | instskip(SKIP_1) | instid1(VALU_DEP_4)
	v_mad_co_u64_u32 v[20:21], null, s19, v32, v[20:21]
	v_mad_co_u64_u32 v[32:33], null, s18, v38, 0
	v_lshlrev_b64_e32 v[22:23], 3, v[26:27]
	v_mad_co_u64_u32 v[36:37], null, s18, v44, 0
	s_delay_alu instid0(VALU_DEP_4) | instskip(NEXT) | instid1(VALU_DEP_4)
	v_dual_mov_b32 v31, v20 :: v_dual_add_nc_u32 v48, 0x6e0, v114
	v_dual_mov_b32 v20, v33 :: v_dual_add_nc_u32 v47, 0x4ba, v114
	s_delay_alu instid0(VALU_DEP_4) | instskip(SKIP_2) | instid1(VALU_DEP_3)
	v_add_co_u32 v22, s0, v2, v22
	s_wait_alu 0xf1ff
	v_add_co_ci_u32_e64 v23, s0, v3, v23, s0
	v_mad_co_u64_u32 v[38:39], null, s19, v38, v[20:21]
	v_add_nc_u32_e32 v50, 0x1b8, v114
	v_add_nc_u32_e32 v117, 0xa5, v114
	;; [unrolled: 1-line block ×4, first 2 shown]
	v_dual_mov_b32 v33, v38 :: v_dual_add_nc_u32 v52, 0x63b, v114
	v_add_nc_u32_e32 v38, 0x294, v114
	v_lshlrev_b64_e32 v[26:27], 3, v[28:29]
	s_delay_alu instid0(VALU_DEP_1) | instskip(SKIP_1) | instid1(VALU_DEP_2)
	v_add_co_u32 v26, s0, v2, v26
	s_wait_alu 0xf1ff
	v_add_co_ci_u32_e64 v27, s0, v3, v27, s0
	s_clause 0x3
	global_load_b64 v[20:21], v[16:17], off
	global_load_b64 v[18:19], v[18:19], off
	;; [unrolled: 1-line block ×4, first 2 shown]
	v_dual_mov_b32 v16, v35 :: v_dual_mov_b32 v17, v37
	v_lshlrev_b64_e32 v[26:27], 3, v[30:31]
	s_delay_alu instid0(VALU_DEP_2) | instskip(SKIP_1) | instid1(VALU_DEP_3)
	v_mad_co_u64_u32 v[30:31], null, s19, v116, v[16:17]
	v_lshlrev_b64_e32 v[31:32], 3, v[32:33]
	v_add_co_u32 v26, s0, v2, v26
	s_wait_alu 0xf1ff
	s_delay_alu instid0(VALU_DEP_4) | instskip(NEXT) | instid1(VALU_DEP_4)
	v_add_co_ci_u32_e64 v27, s0, v3, v27, s0
	v_mov_b32_e32 v35, v30
	s_delay_alu instid0(VALU_DEP_4) | instskip(SKIP_2) | instid1(VALU_DEP_3)
	v_add_co_u32 v30, s0, v2, v31
	s_wait_alu 0xf1ff
	v_add_co_ci_u32_e64 v31, s0, v3, v32, s0
	v_lshlrev_b64_e32 v[32:33], 3, v[34:35]
	s_delay_alu instid0(VALU_DEP_1) | instskip(SKIP_1) | instid1(VALU_DEP_2)
	v_add_co_u32 v32, s0, v2, v32
	s_wait_alu 0xf1ff
	v_add_co_ci_u32_e64 v33, s0, v3, v33, s0
	s_wait_loadcnt 0x2
	v_mad_co_u64_u32 v[16:17], null, s19, v44, v[17:18]
	v_mad_co_u64_u32 v[44:45], null, s18, v47, 0
	s_delay_alu instid0(VALU_DEP_2) | instskip(SKIP_1) | instid1(VALU_DEP_2)
	v_mov_b32_e32 v37, v16
	v_mad_co_u64_u32 v[16:17], null, s18, v38, 0
	v_lshlrev_b64_e32 v[34:35], 3, v[36:37]
	v_mad_co_u64_u32 v[36:37], null, s18, v46, 0
	s_delay_alu instid0(VALU_DEP_3) | instskip(SKIP_1) | instid1(VALU_DEP_4)
	v_mad_co_u64_u32 v[38:39], null, s19, v38, v[17:18]
	v_mov_b32_e32 v39, v45
	v_add_co_u32 v34, s0, v2, v34
	s_wait_alu 0xf1ff
	v_add_co_ci_u32_e64 v35, s0, v3, v35, s0
	s_clause 0x3
	global_load_b64 v[56:57], v[26:27], off
	global_load_b64 v[58:59], v[30:31], off
	;; [unrolled: 1-line block ×4, first 2 shown]
	v_mov_b32_e32 v17, v38
	v_mad_co_u64_u32 v[37:38], null, s19, v46, v[37:38]
	v_mad_co_u64_u32 v[38:39], null, s19, v47, v[39:40]
	v_add_nc_u32_e32 v39, 0x5cd, v114
	v_mad_co_u64_u32 v[46:47], null, s18, v117, 0
	v_lshlrev_b64_e32 v[16:17], 3, v[16:17]
	v_lshlrev_b64_e32 v[34:35], 3, v[36:37]
	s_delay_alu instid0(VALU_DEP_4) | instskip(SKIP_1) | instid1(VALU_DEP_4)
	v_mad_co_u64_u32 v[32:33], null, s18, v39, 0
	v_mov_b32_e32 v45, v38
	v_add_co_u32 v16, s0, v2, v16
	s_wait_alu 0xf1ff
	v_add_co_ci_u32_e64 v17, s0, v3, v17, s0
	s_delay_alu instid0(VALU_DEP_3)
	v_lshlrev_b64_e32 v[36:37], 3, v[44:45]
	v_mad_co_u64_u32 v[38:39], null, s19, v39, v[33:34]
	v_mad_co_u64_u32 v[44:45], null, s18, v48, 0
	v_mov_b32_e32 v39, v47
	v_add_co_u32 v34, s0, v2, v34
	s_wait_alu 0xf1ff
	v_add_co_ci_u32_e64 v35, s0, v3, v35, s0
	s_delay_alu instid0(VALU_DEP_4) | instskip(SKIP_3) | instid1(VALU_DEP_3)
	v_dual_mov_b32 v33, v38 :: v_dual_mov_b32 v38, v45
	v_add_co_u32 v36, s0, v2, v36
	s_wait_alu 0xf1ff
	v_add_co_ci_u32_e64 v37, s0, v3, v37, s0
	v_mad_co_u64_u32 v[47:48], null, s19, v48, v[38:39]
	v_mad_co_u64_u32 v[38:39], null, s19, v117, v[39:40]
	v_lshlrev_b64_e32 v[32:33], 3, v[32:33]
	v_mad_co_u64_u32 v[48:49], null, s18, v51, 0
	s_delay_alu instid0(VALU_DEP_4) | instskip(NEXT) | instid1(VALU_DEP_4)
	v_mov_b32_e32 v45, v47
	v_mov_b32_e32 v47, v38
	v_mad_co_u64_u32 v[38:39], null, s18, v50, 0
	v_add_co_u32 v32, s0, v2, v32
	s_wait_alu 0xf1ff
	v_add_co_ci_u32_e64 v33, s0, v3, v33, s0
	s_clause 0x3
	global_load_b64 v[62:63], v[16:17], off
	global_load_b64 v[70:71], v[34:35], off
	;; [unrolled: 1-line block ×4, first 2 shown]
	v_lshlrev_b64_e32 v[33:34], 3, v[46:47]
	v_dual_mov_b32 v32, v39 :: v_dual_mov_b32 v35, v49
	v_add_nc_u32_e32 v47, 0x3de, v114
	v_lshlrev_b64_e32 v[16:17], 3, v[44:45]
	s_delay_alu instid0(VALU_DEP_3) | instskip(NEXT) | instid1(VALU_DEP_2)
	v_mad_co_u64_u32 v[36:37], null, s19, v50, v[32:33]
	v_add_co_u32 v16, s0, v2, v16
	s_wait_alu 0xf1ff
	s_delay_alu instid0(VALU_DEP_3) | instskip(NEXT) | instid1(VALU_DEP_3)
	v_add_co_ci_u32_e64 v17, s0, v3, v17, s0
	v_mad_co_u64_u32 v[44:45], null, s19, v51, v[35:36]
	v_mad_co_u64_u32 v[45:46], null, s18, v47, 0
	v_mov_b32_e32 v39, v36
	v_add_co_u32 v32, s0, v2, v33
	s_wait_alu 0xf1ff
	v_add_co_ci_u32_e64 v33, s0, v3, v34, s0
	s_delay_alu instid0(VALU_DEP_3) | instskip(SKIP_4) | instid1(VALU_DEP_4)
	v_lshlrev_b64_e32 v[35:36], 3, v[38:39]
	v_dual_mov_b32 v34, v46 :: v_dual_mov_b32 v49, v44
	v_add_nc_u32_e32 v39, 0x4f1, v114
	v_add_nc_u32_e32 v44, 0x604, v114
	;; [unrolled: 1-line block ×3, first 2 shown]
	v_mad_co_u64_u32 v[46:47], null, s19, v47, v[34:35]
	v_lshlrev_b64_e32 v[37:38], 3, v[48:49]
	v_mad_co_u64_u32 v[47:48], null, s18, v39, 0
	v_add_co_u32 v34, s0, v2, v35
	s_wait_alu 0xf1ff
	v_add_co_ci_u32_e64 v35, s0, v3, v36, s0
	s_delay_alu instid0(VALU_DEP_4)
	v_add_co_u32 v36, s0, v2, v37
	s_wait_alu 0xf1ff
	v_add_co_ci_u32_e64 v37, s0, v3, v38, s0
	v_mov_b32_e32 v38, v48
	v_mad_co_u64_u32 v[49:50], null, s18, v44, 0
	s_clause 0x3
	global_load_b64 v[88:89], v[16:17], off
	global_load_b64 v[66:67], v[32:33], off
	global_load_b64 v[76:77], v[34:35], off
	global_load_b64 v[74:75], v[36:37], off
	v_lshlrev_b64_e32 v[16:17], 3, v[45:46]
	v_mad_co_u64_u32 v[38:39], null, s19, v39, v[38:39]
	v_dual_mov_b32 v32, v50 :: v_dual_add_nc_u32 v39, 0x717, v114
	s_delay_alu instid0(VALU_DEP_3) | instskip(NEXT) | instid1(VALU_DEP_2)
	v_add_co_u32 v16, s0, v2, v16
	v_mad_co_u64_u32 v[33:34], null, s18, v39, 0
	s_delay_alu instid0(VALU_DEP_4) | instskip(SKIP_2) | instid1(VALU_DEP_3)
	v_mov_b32_e32 v48, v38
	s_wait_alu 0xf1ff
	v_add_co_ci_u32_e64 v17, s0, v3, v17, s0
	v_mad_co_u64_u32 v[35:36], null, s19, v44, v[32:33]
	s_delay_alu instid0(VALU_DEP_4) | instskip(SKIP_1) | instid1(VALU_DEP_3)
	v_mov_b32_e32 v32, v34
	v_lshlrev_b64_e32 v[36:37], 3, v[47:48]
	v_mov_b32_e32 v50, v35
	s_delay_alu instid0(VALU_DEP_3) | instskip(SKIP_1) | instid1(VALU_DEP_4)
	v_mad_co_u64_u32 v[34:35], null, s19, v39, v[32:33]
	v_mad_co_u64_u32 v[38:39], null, s18, v118, 0
	v_add_co_u32 v35, s0, v2, v36
	s_wait_alu 0xf1ff
	v_add_co_ci_u32_e64 v36, s0, v3, v37, s0
	v_add_nc_u32_e32 v37, 0x1ef, v114
	v_lshlrev_b64_e32 v[44:45], 3, v[49:50]
	v_lshlrev_b64_e32 v[33:34], 3, v[33:34]
	v_mov_b32_e32 v32, v39
	v_add_nc_u32_e32 v50, 0x302, v114
	v_mad_co_u64_u32 v[46:47], null, s18, v37, 0
	v_add_co_u32 v44, s0, v2, v44
	s_delay_alu instid0(VALU_DEP_4) | instskip(SKIP_2) | instid1(VALU_DEP_4)
	v_mad_co_u64_u32 v[48:49], null, s19, v118, v[32:33]
	s_wait_alu 0xf1ff
	v_add_co_ci_u32_e64 v45, s0, v3, v45, s0
	v_mov_b32_e32 v32, v47
	v_add_co_u32 v33, s0, v2, v33
	s_wait_alu 0xf1ff
	v_add_co_ci_u32_e64 v34, s0, v3, v34, s0
	v_mov_b32_e32 v39, v48
	s_delay_alu instid0(VALU_DEP_3)
	v_mad_co_u64_u32 v[47:48], null, s19, v37, v[32:33]
	v_mad_co_u64_u32 v[48:49], null, s18, v50, 0
	s_clause 0x3
	global_load_b64 v[90:91], v[16:17], off
	global_load_b64 v[84:85], v[35:36], off
	;; [unrolled: 1-line block ×4, first 2 shown]
	v_add_nc_u32_e32 v44, 0x415, v114
	v_lshlrev_b64_e32 v[16:17], 3, v[38:39]
	v_lshlrev_b64_e32 v[38:39], 3, v[46:47]
	s_delay_alu instid0(VALU_DEP_3) | instskip(SKIP_1) | instid1(VALU_DEP_4)
	v_mad_co_u64_u32 v[33:34], null, s18, v44, 0
	v_mov_b32_e32 v32, v49
	v_add_co_u32 v16, s0, v2, v16
	s_wait_alu 0xf1ff
	v_add_co_ci_u32_e64 v17, s0, v3, v17, s0
	v_add_co_u32 v38, s0, v2, v38
	v_mad_co_u64_u32 v[35:36], null, s19, v50, v[32:33]
	v_mad_co_u64_u32 v[36:37], null, s18, v51, 0
	v_mov_b32_e32 v32, v34
	s_wait_alu 0xf1ff
	v_add_co_ci_u32_e64 v39, s0, v3, v39, s0
	s_delay_alu instid0(VALU_DEP_4) | instskip(NEXT) | instid1(VALU_DEP_3)
	v_mov_b32_e32 v49, v35
	v_mad_co_u64_u32 v[34:35], null, s19, v44, v[32:33]
	v_mov_b32_e32 v32, v37
	v_mad_co_u64_u32 v[44:45], null, s18, v52, 0
	v_add_nc_u32_e32 v35, 0x74e, v114
	s_delay_alu instid0(VALU_DEP_3) | instskip(SKIP_1) | instid1(VALU_DEP_3)
	v_mad_co_u64_u32 v[46:47], null, s19, v51, v[32:33]
	v_lshlrev_b64_e32 v[47:48], 3, v[48:49]
	v_mad_co_u64_u32 v[50:51], null, s18, v35, 0
	s_delay_alu instid0(VALU_DEP_3) | instskip(NEXT) | instid1(VALU_DEP_1)
	v_dual_mov_b32 v32, v45 :: v_dual_mov_b32 v37, v46
	v_mad_co_u64_u32 v[45:46], null, s19, v52, v[32:33]
	s_delay_alu instid0(VALU_DEP_3)
	v_mov_b32_e32 v32, v51
	v_lshlrev_b64_e32 v[33:34], 3, v[33:34]
	v_add_co_u32 v46, s0, v2, v47
	s_wait_alu 0xf1ff
	v_add_co_ci_u32_e64 v47, s0, v3, v48, s0
	v_lshlrev_b64_e32 v[44:45], 3, v[44:45]
	s_delay_alu instid0(VALU_DEP_4) | instskip(SKIP_4) | instid1(VALU_DEP_4)
	v_mad_co_u64_u32 v[48:49], null, s19, v35, v[32:33]
	v_lshlrev_b64_e32 v[35:36], 3, v[36:37]
	v_add_co_u32 v32, s0, v2, v33
	s_wait_alu 0xf1ff
	v_add_co_ci_u32_e64 v33, s0, v3, v34, s0
	v_mov_b32_e32 v51, v48
	s_delay_alu instid0(VALU_DEP_4) | instskip(SKIP_2) | instid1(VALU_DEP_3)
	v_add_co_u32 v34, s0, v2, v35
	s_wait_alu 0xf1ff
	v_add_co_ci_u32_e64 v35, s0, v3, v36, s0
	v_lshlrev_b64_e32 v[36:37], 3, v[50:51]
	v_add_co_u32 v44, s0, v2, v44
	s_wait_alu 0xf1ff
	v_add_co_ci_u32_e64 v45, s0, v3, v45, s0
	s_delay_alu instid0(VALU_DEP_3)
	v_add_co_u32 v2, s0, v2, v36
	s_wait_alu 0xf1ff
	v_add_co_ci_u32_e64 v3, s0, v3, v37, s0
	s_clause 0x6
	global_load_b64 v[98:99], v[16:17], off
	global_load_b64 v[104:105], v[38:39], off
	;; [unrolled: 1-line block ×7, first 2 shown]
.LBB0_13:
	s_or_b32 exec_lo, exec_lo, s1
	v_dual_add_f32 v2, v24, v4 :: v_dual_sub_f32 v33, v13, v1
	v_dual_add_f32 v3, v14, v8 :: v_dual_sub_f32 v16, v5, v25
	;; [unrolled: 1-line block ×3, first 2 shown]
	s_wait_loadcnt 0x16
	v_sub_f32_e32 v38, v19, v57
	s_delay_alu instid0(VALU_DEP_3) | instskip(NEXT) | instid1(VALU_DEP_3)
	v_dual_add_f32 v34, v2, v3 :: v_dual_sub_f32 v35, v3, v2
	v_dual_sub_f32 v2, v2, v17 :: v_dual_sub_f32 v3, v17, v3
	v_add_f32_e32 v36, v32, v33
	s_delay_alu instid0(VALU_DEP_3) | instskip(SKIP_1) | instid1(VALU_DEP_4)
	v_dual_add_f32 v17, v34, v17 :: v_dual_sub_f32 v34, v33, v32
	v_sub_f32_e32 v33, v16, v33
	v_dual_sub_f32 v32, v32, v16 :: v_dual_mul_f32 v3, 0x3d64c772, v3
	s_delay_alu instid0(VALU_DEP_4) | instskip(NEXT) | instid1(VALU_DEP_4)
	v_add_f32_e32 v16, v16, v36
	v_add_f32_e32 v36, v17, v6
	v_mul_f32_e32 v34, 0x3f08b237, v34
	v_mul_f32_e32 v6, 0x3f4a47b2, v2
	v_fmamk_f32 v2, v2, 0x3f4a47b2, v3
	v_fma_f32 v3, 0x3f3bfb3b, v35, -v3
	v_fmamk_f32 v17, v17, 0xbf955555, v36
	v_mul_f32_e32 v37, 0xbf5ff5aa, v32
	v_fma_f32 v32, 0xbf5ff5aa, v32, -v34
	v_dual_fmamk_f32 v34, v33, 0xbeae86e6, v34 :: v_dual_sub_f32 v39, v23, v29
	s_delay_alu instid0(VALU_DEP_4)
	v_add_f32_e32 v3, v3, v17
	v_add_f32_e32 v2, v2, v17
	v_fma_f32 v33, 0x3eae86e6, v33, -v37
	v_dual_add_f32 v37, v28, v22 :: v_dual_fmac_f32 v32, 0xbee1c552, v16
	v_fmac_f32_e32 v34, 0xbee1c552, v16
	v_mad_i32_i24 v123, v116, 28, 0
	s_delay_alu instid0(VALU_DEP_4)
	v_fmac_f32_e32 v33, 0xbee1c552, v16
	v_mul_i32_i24_e32 v135, 28, v118
	v_sub_f32_e32 v16, v3, v32
	v_add_f32_e32 v3, v3, v32
	v_fma_f32 v6, 0xbf3bfb3b, v35, -v6
	s_wait_loadcnt 0x15
	v_dual_add_f32 v32, v56, v18 :: v_dual_sub_f32 v35, v21, v59
	v_cmp_gt_u32_e64 s0, 10, v114
	v_mul_i32_i24_e32 v134, 0xffffffe8, v115
	v_add_f32_e32 v6, v6, v17
	v_add_f32_e32 v17, v58, v20
	v_mul_i32_i24_e32 v133, 0xffffffe8, v116
	s_wait_loadcnt 0x10
	v_add_f32_e32 v48, v70, v64
	s_delay_alu instid0(VALU_DEP_3) | instskip(SKIP_1) | instid1(VALU_DEP_2)
	v_dual_add_f32 v44, v17, v32 :: v_dual_sub_f32 v45, v32, v17
	v_sub_f32_e32 v17, v17, v37
	v_dual_sub_f32 v32, v37, v32 :: v_dual_add_f32 v37, v44, v37
	s_delay_alu instid0(VALU_DEP_2) | instskip(NEXT) | instid1(VALU_DEP_2)
	v_mul_f32_e32 v44, 0x3f4a47b2, v17
	v_add_f32_e32 v10, v37, v10
	s_delay_alu instid0(VALU_DEP_2) | instskip(NEXT) | instid1(VALU_DEP_2)
	v_fma_f32 v44, 0xbf3bfb3b, v45, -v44
	v_fmamk_f32 v37, v37, 0xbf955555, v10
	v_mul_f32_e32 v32, 0x3d64c772, v32
	s_delay_alu instid0(VALU_DEP_1) | instskip(SKIP_2) | instid1(VALU_DEP_3)
	v_dual_fmamk_f32 v17, v17, 0x3f4a47b2, v32 :: v_dual_add_f32 v46, v38, v39
	v_dual_sub_f32 v47, v39, v38 :: v_dual_sub_f32 v38, v38, v35
	v_sub_f32_e32 v39, v35, v39
	v_add_f32_e32 v17, v17, v37
	s_delay_alu instid0(VALU_DEP_3) | instskip(SKIP_1) | instid1(VALU_DEP_1)
	v_dual_add_f32 v35, v35, v46 :: v_dual_mul_f32 v46, 0x3f08b237, v47
	v_fma_f32 v32, 0x3f3bfb3b, v45, -v32
	v_dual_mul_f32 v47, 0xbf5ff5aa, v38 :: v_dual_add_f32 v32, v32, v37
	v_add_f32_e32 v37, v44, v37
	s_delay_alu instid0(VALU_DEP_4) | instskip(SKIP_1) | instid1(VALU_DEP_4)
	v_fma_f32 v38, 0xbf5ff5aa, v38, -v46
	v_fmamk_f32 v45, v39, 0xbeae86e6, v46
	v_fma_f32 v39, 0x3eae86e6, v39, -v47
	v_add_f32_e32 v44, v6, v33
	v_add_f32_e32 v46, v2, v34
	v_dual_fmac_f32 v38, 0xbee1c552, v35 :: v_dual_sub_f32 v33, v6, v33
	v_fmac_f32_e32 v45, 0xbee1c552, v35
	v_dual_fmac_f32 v39, 0xbee1c552, v35 :: v_dual_sub_f32 v2, v2, v34
	s_delay_alu instid0(VALU_DEP_3) | instskip(SKIP_1) | instid1(VALU_DEP_4)
	v_sub_f32_e32 v47, v32, v38
	v_add_f32_e32 v32, v32, v38
	v_add_f32_e32 v34, v17, v45
	s_delay_alu instid0(VALU_DEP_4)
	v_add_f32_e32 v35, v37, v39
	s_wait_loadcnt 0xe
	v_dual_sub_f32 v37, v37, v39 :: v_dual_add_f32 v38, v88, v30
	v_add_f32_e32 v39, v72, v62
	v_sub_f32_e32 v17, v17, v45
	v_sub_f32_e32 v45, v31, v89
	;; [unrolled: 1-line block ×3, first 2 shown]
	s_delay_alu instid0(VALU_DEP_4) | instskip(SKIP_2) | instid1(VALU_DEP_3)
	v_dual_sub_f32 v51, v65, v71 :: v_dual_sub_f32 v52, v39, v38
	v_add_f32_e32 v50, v38, v39
	v_dual_sub_f32 v38, v38, v48 :: v_dual_sub_f32 v39, v48, v39
	v_sub_f32_e32 v53, v51, v49
	v_mad_u32_u24 v6, v114, 28, 0
	s_delay_alu instid0(VALU_DEP_4)
	v_add_f32_e32 v48, v50, v48
	v_add_f32_e32 v50, v49, v51
	v_sub_f32_e32 v49, v49, v45
	v_sub_f32_e32 v51, v45, v51
	ds_store_2addr_b32 v6, v36, v46 offset1:1
	ds_store_2addr_b32 v6, v44, v16 offset0:2 offset1:3
	ds_store_2addr_b32 v6, v3, v33 offset0:4 offset1:5
	ds_store_b32 v6, v2 offset:24
	v_add_f32_e32 v54, v48, v26
	s_wait_loadcnt 0x7
	v_add_f32_e32 v2, v96, v76
	v_dual_add_f32 v3, v92, v74 :: v_dual_add_f32 v36, v90, v84
	s_delay_alu instid0(VALU_DEP_3)
	v_fmamk_f32 v48, v48, 0xbf955555, v54
	v_mul_f32_e32 v39, 0x3d64c772, v39
	v_mul_f32_e32 v26, 0x3f08b237, v53
	;; [unrolled: 1-line block ×3, first 2 shown]
	v_add_f32_e32 v45, v45, v50
	v_mul_f32_e32 v50, 0x3f4a47b2, v38
	v_fmamk_f32 v38, v38, 0x3f4a47b2, v39
	v_fma_f32 v49, 0xbf5ff5aa, v49, -v26
	v_add_f32_e32 v44, v2, v3
	s_delay_alu instid0(VALU_DEP_4) | instskip(NEXT) | instid1(VALU_DEP_4)
	v_fma_f32 v50, 0xbf3bfb3b, v52, -v50
	v_add_f32_e32 v38, v38, v48
	v_fma_f32 v39, 0x3f3bfb3b, v52, -v39
	v_fma_f32 v52, 0x3eae86e6, v51, -v53
	v_fmac_f32_e32 v49, 0xbee1c552, v45
	v_fmamk_f32 v51, v51, 0xbeae86e6, v26
	s_delay_alu instid0(VALU_DEP_4) | instskip(NEXT) | instid1(VALU_DEP_4)
	v_add_f32_e32 v26, v39, v48
	v_fmac_f32_e32 v52, 0xbee1c552, v45
	s_delay_alu instid0(VALU_DEP_3) | instskip(NEXT) | instid1(VALU_DEP_3)
	v_fmac_f32_e32 v51, 0xbee1c552, v45
	v_sub_f32_e32 v45, v26, v49
	v_add_f32_e32 v39, v50, v48
	v_add_f32_e32 v48, v26, v49
	s_delay_alu instid0(VALU_DEP_4) | instskip(SKIP_1) | instid1(VALU_DEP_4)
	v_add_f32_e32 v16, v38, v51
	v_dual_sub_f32 v33, v38, v51 :: v_dual_sub_f32 v38, v75, v93
	v_add_f32_e32 v49, v39, v52
	v_sub_f32_e32 v39, v39, v52
	v_dual_sub_f32 v51, v77, v97 :: v_dual_sub_f32 v50, v3, v2
	v_dual_sub_f32 v3, v36, v3 :: v_dual_sub_f32 v2, v2, v36
	v_mad_i32_i24 v26, v115, 28, 0
	v_add_f32_e32 v36, v44, v36
	ds_store_2addr_b32 v26, v10, v34 offset1:1
	ds_store_2addr_b32 v26, v35, v47 offset0:2 offset1:3
	ds_store_2addr_b32 v26, v32, v37 offset0:4 offset1:5
	ds_store_b32 v26, v17 offset:24
	v_mul_f32_e32 v3, 0x3d64c772, v3
	s_wait_loadcnt 0x2
	v_dual_sub_f32 v46, v85, v91 :: v_dual_add_f32 v37, v108, v106
	s_wait_loadcnt 0x0
	v_add_f32_e32 v17, v112, v104
	ds_store_2addr_b32 v123, v54, v16 offset1:1
	ds_store_2addr_b32 v123, v49, v45 offset0:2 offset1:3
	ds_store_2addr_b32 v123, v48, v39 offset0:4 offset1:5
	ds_store_b32 v123, v33 offset:24
	v_dual_sub_f32 v33, v107, v109 :: v_dual_add_f32 v44, v38, v46
	v_dual_add_f32 v34, v110, v102 :: v_dual_sub_f32 v35, v103, v111
	v_sub_f32_e32 v32, v105, v113
	v_mad_i32_i24 v10, v117, 28, 0
	s_delay_alu instid0(VALU_DEP_4)
	v_add_f32_e32 v44, v51, v44
	v_sub_f32_e32 v52, v46, v38
	v_sub_f32_e32 v38, v38, v51
	;; [unrolled: 1-line block ×3, first 2 shown]
	v_dual_mul_f32 v51, 0x3f4a47b2, v2 :: v_dual_fmamk_f32 v2, v2, 0x3f4a47b2, v3
	v_fma_f32 v3, 0x3f3bfb3b, v50, -v3
	s_delay_alu instid0(VALU_DEP_4) | instskip(SKIP_1) | instid1(VALU_DEP_4)
	v_mul_f32_e32 v55, 0xbf5ff5aa, v38
	v_add_f32_e32 v53, v36, v66
	v_fma_f32 v50, 0xbf3bfb3b, v50, -v51
	v_dual_add_f32 v16, v17, v34 :: v_dual_sub_f32 v39, v34, v17
	s_delay_alu instid0(VALU_DEP_4) | instskip(NEXT) | instid1(VALU_DEP_4)
	v_fma_f32 v51, 0x3eae86e6, v46, -v55
	v_dual_fmamk_f32 v36, v36, 0xbf955555, v53 :: v_dual_sub_f32 v17, v17, v37
	v_sub_f32_e32 v34, v37, v34
	s_delay_alu instid0(VALU_DEP_3) | instskip(NEXT) | instid1(VALU_DEP_3)
	v_dual_add_f32 v16, v16, v37 :: v_dual_fmac_f32 v51, 0xbee1c552, v44
	v_add_f32_e32 v3, v3, v36
	v_mul_f32_e32 v52, 0x3f08b237, v52
	v_dual_add_f32 v50, v50, v36 :: v_dual_add_f32 v37, v35, v33
	v_dual_add_f32 v2, v2, v36 :: v_dual_sub_f32 v45, v33, v35
	s_delay_alu instid0(VALU_DEP_3) | instskip(SKIP_2) | instid1(VALU_DEP_4)
	v_fma_f32 v38, 0xbf5ff5aa, v38, -v52
	v_dual_sub_f32 v33, v32, v33 :: v_dual_mul_f32 v34, 0x3d64c772, v34
	v_sub_f32_e32 v35, v35, v32
	v_mul_f32_e32 v45, 0x3f08b237, v45
	s_delay_alu instid0(VALU_DEP_4) | instskip(SKIP_1) | instid1(VALU_DEP_3)
	v_fmac_f32_e32 v38, 0xbee1c552, v44
	s_load_b64 s[2:3], s[2:3], 0x0
                                        ; implicit-def: $vgpr54
	v_mul_f32_e32 v47, 0xbf5ff5aa, v35
	s_delay_alu instid0(VALU_DEP_3) | instskip(NEXT) | instid1(VALU_DEP_3)
	v_fma_f32 v35, 0xbf5ff5aa, v35, -v45
	v_sub_f32_e32 v36, v3, v38
	v_dual_add_f32 v3, v3, v38 :: v_dual_fmamk_f32 v46, v46, 0xbeae86e6, v52
	v_add_f32_e32 v38, v50, v51
	s_delay_alu instid0(VALU_DEP_2) | instskip(SKIP_1) | instid1(VALU_DEP_2)
	v_fmac_f32_e32 v46, 0xbee1c552, v44
	v_sub_f32_e32 v44, v50, v51
	v_add_f32_e32 v50, v2, v46
	v_sub_f32_e32 v2, v2, v46
	v_add_f32_e32 v46, v16, v98
	v_mad_i32_i24 v98, 0xffffffe8, v114, v6
	s_delay_alu instid0(VALU_DEP_1)
	v_dual_add_f32 v32, v32, v37 :: v_dual_add_nc_u32 v125, 0x600, v98
	v_mul_f32_e32 v37, 0x3f4a47b2, v17
	v_fmamk_f32 v17, v17, 0x3f4a47b2, v34
	v_fma_f32 v34, 0x3f3bfb3b, v39, -v34
	v_add_nc_u32_e32 v129, 0x1000, v98
	v_fmac_f32_e32 v35, 0xbee1c552, v32
	v_fma_f32 v37, 0xbf3bfb3b, v39, -v37
	v_fmamk_f32 v39, v33, 0xbeae86e6, v45
	v_fma_f32 v33, 0x3eae86e6, v33, -v47
	v_add_nc_u32_e32 v127, 0x1400, v98
	v_add_nc_u32_e32 v131, 0x1600, v98
	;; [unrolled: 1-line block ×3, first 2 shown]
	v_fmac_f32_e32 v39, 0xbee1c552, v32
	v_fmamk_f32 v16, v16, 0xbf955555, v46
	v_fmac_f32_e32 v33, 0xbee1c552, v32
	v_add_nc_u32_e32 v124, 0x800, v98
	v_add_nc_u32_e32 v126, 0xc00, v98
	s_delay_alu instid0(VALU_DEP_4)
	v_dual_add_f32 v17, v17, v16 :: v_dual_add_nc_u32 v132, 0x1a00, v98
	v_add_f32_e32 v34, v34, v16
	v_add_f32_e32 v16, v37, v16
	v_mad_i32_i24 v37, v118, 28, 0
	v_add_nc_u32_e32 v130, 0x200, v98
	v_add_nc_u32_e32 v128, 0x1800, v98
	s_delay_alu instid0(VALU_DEP_4)
	v_dual_sub_f32 v32, v34, v35 :: v_dual_sub_f32 v119, v16, v33
	v_dual_add_f32 v34, v34, v35 :: v_dual_add_f32 v35, v16, v33
	v_add_f32_e32 v33, v17, v39
	v_sub_f32_e32 v16, v17, v39
	ds_store_2addr_b32 v10, v53, v50 offset1:1
	ds_store_2addr_b32 v10, v38, v36 offset0:2 offset1:3
	ds_store_2addr_b32 v10, v3, v44 offset0:4 offset1:5
	ds_store_b32 v10, v2 offset:24
	ds_store_2addr_b32 v37, v46, v33 offset1:1
	ds_store_2addr_b32 v37, v35, v32 offset0:2 offset1:3
	ds_store_2addr_b32 v37, v34, v119 offset0:4 offset1:5
	ds_store_b32 v37, v16 offset:24
	v_mad_i32_i24 v2, 0xffffffe8, v116, v123
	v_mad_i32_i24 v3, 0xffffffe8, v115, v26
	global_wb scope:SCOPE_SE
	s_wait_dscnt 0x0
	s_wait_kmcnt 0x0
	s_barrier_signal -1
	s_barrier_wait -1
	global_inv scope:SCOPE_SE
	ds_load_b32 v120, v2
	ds_load_b32 v121, v3
	ds_load_b32 v122, v98 offset:7440
	ds_load_2addr_b32 v[2:3], v98 offset1:175
	ds_load_2addr_b32 v[32:33], v66 offset0:94 offset1:149
	ds_load_2addr_b32 v[34:35], v125 offset0:76 offset1:141
	;; [unrolled: 1-line block ×12, first 2 shown]
	ds_load_2addr_b32 v[82:83], v127 offset1:55
	ds_load_2addr_b32 v[100:101], v128 offset0:94 offset1:149
                                        ; implicit-def: $vgpr50
                                        ; implicit-def: $vgpr47
                                        ; implicit-def: $vgpr53
	s_and_saveexec_b32 s1, s0
	s_cbranch_execz .LBB0_15
; %bb.14:
	v_mad_i32_i24 v16, 0xffffffe8, v117, v10
	v_add_nc_u32_e32 v17, 0x500, v98
	v_add_nc_u32_e32 v46, 0xa00, v98
	;; [unrolled: 1-line block ×3, first 2 shown]
	ds_load_b32 v119, v16
	ds_load_2addr_b32 v[16:17], v17 offset0:20 offset1:195
	ds_load_2addr_b32 v[54:55], v46 offset0:50 offset1:225
	;; [unrolled: 1-line block ×5, first 2 shown]
.LBB0_15:
	s_wait_alu 0xfffe
	s_or_b32 exec_lo, exec_lo, s1
	v_dual_add_f32 v5, v25, v5 :: v_dual_sub_f32 v4, v4, v24
	v_dual_add_f32 v9, v15, v9 :: v_dual_sub_f32 v8, v8, v14
	;; [unrolled: 1-line block ×3, first 2 shown]
	global_wb scope:SCOPE_SE
	s_wait_dscnt 0x0
	v_add_f32_e32 v12, v5, v9
	v_sub_f32_e32 v13, v9, v5
	v_sub_f32_e32 v5, v5, v1
	v_dual_sub_f32 v9, v1, v9 :: v_dual_add_f32 v14, v8, v0
	s_delay_alu instid0(VALU_DEP_4) | instskip(SKIP_1) | instid1(VALU_DEP_3)
	v_add_f32_e32 v1, v12, v1
	v_sub_f32_e32 v12, v0, v8
	v_dual_sub_f32 v0, v4, v0 :: v_dual_mul_f32 v9, 0x3d64c772, v9
	s_barrier_signal -1
	s_barrier_wait -1
	s_delay_alu instid0(VALU_DEP_2) | instskip(SKIP_3) | instid1(VALU_DEP_3)
	v_mul_f32_e32 v12, 0x3f08b237, v12
	v_dual_sub_f32 v8, v8, v4 :: v_dual_add_f32 v7, v1, v7
	v_add_f32_e32 v4, v4, v14
	v_dual_mul_f32 v14, 0x3f4a47b2, v5 :: v_dual_fmamk_f32 v5, v5, 0x3f4a47b2, v9
	v_mul_f32_e32 v15, 0xbf5ff5aa, v8
	s_delay_alu instid0(VALU_DEP_4) | instskip(SKIP_1) | instid1(VALU_DEP_4)
	v_fmamk_f32 v1, v1, 0xbf955555, v7
	v_fma_f32 v9, 0x3f3bfb3b, v13, -v9
	v_fma_f32 v13, 0xbf3bfb3b, v13, -v14
	v_fmamk_f32 v14, v0, 0xbeae86e6, v12
	v_fma_f32 v8, 0xbf5ff5aa, v8, -v12
	v_fma_f32 v0, 0x3eae86e6, v0, -v15
	v_sub_f32_e32 v18, v18, v56
	global_inv scope:SCOPE_SE
	v_fmac_f32_e32 v8, 0xbee1c552, v4
	v_fmac_f32_e32 v14, 0xbee1c552, v4
	;; [unrolled: 1-line block ×3, first 2 shown]
	v_add_f32_e32 v4, v59, v21
	v_add_f32_e32 v9, v9, v1
	;; [unrolled: 1-line block ×3, first 2 shown]
	v_sub_f32_e32 v21, v22, v28
	v_dual_sub_f32 v28, v62, v72 :: v_dual_sub_f32 v59, v84, v90
	s_delay_alu instid0(VALU_DEP_4) | instskip(SKIP_4) | instid1(VALU_DEP_4)
	v_dual_add_f32 v15, v8, v9 :: v_dual_sub_f32 v8, v9, v8
	v_add_f32_e32 v9, v57, v19
	v_sub_f32_e32 v12, v5, v14
	v_dual_sub_f32 v19, v20, v58 :: v_dual_add_f32 v20, v29, v23
	v_add_f32_e32 v1, v13, v1
	v_dual_add_f32 v22, v4, v9 :: v_dual_sub_f32 v23, v9, v4
	v_add_f32_e32 v24, v18, v21
	s_delay_alu instid0(VALU_DEP_4) | instskip(NEXT) | instid1(VALU_DEP_3)
	v_sub_f32_e32 v4, v4, v20
	v_dual_sub_f32 v9, v20, v9 :: v_dual_add_f32 v20, v22, v20
	v_sub_f32_e32 v13, v1, v0
	v_dual_sub_f32 v22, v21, v18 :: v_dual_sub_f32 v21, v19, v21
	s_delay_alu instid0(VALU_DEP_3) | instskip(NEXT) | instid1(VALU_DEP_4)
	v_mul_f32_e32 v9, 0x3d64c772, v9
	v_add_f32_e32 v11, v20, v11
	v_add_f32_e32 v0, v0, v1
	;; [unrolled: 1-line block ×3, first 2 shown]
	v_dual_sub_f32 v29, v64, v70 :: v_dual_sub_f32 v58, v74, v92
	s_delay_alu instid0(VALU_DEP_4)
	v_fmamk_f32 v20, v20, 0xbf955555, v11
	v_dual_sub_f32 v18, v18, v19 :: v_dual_add_f32 v19, v19, v24
	v_mul_f32_e32 v24, 0x3f4a47b2, v4
	v_mul_f32_e32 v22, 0x3f08b237, v22
	v_fmamk_f32 v4, v4, 0x3f4a47b2, v9
	v_fma_f32 v9, 0x3f3bfb3b, v23, -v9
	v_sub_f32_e32 v70, v102, v110
	v_fma_f32 v23, 0xbf3bfb3b, v23, -v24
	v_fmamk_f32 v24, v21, 0xbeae86e6, v22
	v_add_f32_e32 v4, v4, v20
	v_add_f32_e32 v9, v9, v20
	v_mul_f32_e32 v25, 0xbf5ff5aa, v18
	v_fma_f32 v18, 0xbf5ff5aa, v18, -v22
	v_fmac_f32_e32 v24, 0xbee1c552, v19
	v_add_nc_u32_e32 v84, v26, v134
	v_add_f32_e32 v64, v58, v59
	v_fma_f32 v21, 0x3eae86e6, v21, -v25
	v_dual_add_f32 v25, v71, v65 :: v_dual_fmac_f32 v18, 0xbee1c552, v19
	v_sub_f32_e32 v5, v4, v24
	v_sub_f32_e32 v71, v106, v108
	s_delay_alu instid0(VALU_DEP_4) | instskip(NEXT) | instid1(VALU_DEP_4)
	v_fmac_f32_e32 v21, 0xbee1c552, v19
	v_dual_add_f32 v19, v18, v9 :: v_dual_add_f32 v20, v23, v20
	v_sub_f32_e32 v9, v9, v18
	v_dual_add_f32 v18, v89, v31 :: v_dual_sub_f32 v23, v30, v88
	v_add_f32_e32 v22, v73, v63
	v_lshl_add_u32 v88, v117, 2, 0
	v_add_f32_e32 v74, v70, v71
	s_delay_alu instid0(VALU_DEP_3) | instskip(SKIP_2) | instid1(VALU_DEP_3)
	v_add_f32_e32 v30, v18, v22
	v_sub_f32_e32 v31, v22, v18
	v_sub_f32_e32 v18, v18, v25
	v_dual_sub_f32 v22, v25, v22 :: v_dual_add_f32 v25, v30, v25
	v_sub_f32_e32 v30, v29, v28
	s_delay_alu instid0(VALU_DEP_2) | instskip(SKIP_2) | instid1(VALU_DEP_4)
	v_dual_mul_f32 v22, 0x3d64c772, v22 :: v_dual_add_f32 v27, v25, v27
	v_add_f32_e32 v56, v28, v29
	v_dual_sub_f32 v28, v28, v23 :: v_dual_sub_f32 v29, v23, v29
	v_mul_f32_e32 v30, 0x3f08b237, v30
	s_delay_alu instid0(VALU_DEP_4) | instskip(NEXT) | instid1(VALU_DEP_4)
	v_dual_fmamk_f32 v25, v25, 0xbf955555, v27 :: v_dual_sub_f32 v14, v20, v21
	v_add_f32_e32 v23, v23, v56
	s_delay_alu instid0(VALU_DEP_4) | instskip(SKIP_4) | instid1(VALU_DEP_4)
	v_mul_f32_e32 v57, 0xbf5ff5aa, v28
	v_mul_f32_e32 v56, 0x3f4a47b2, v18
	v_add_f32_e32 v20, v21, v20
	v_dual_add_f32 v21, v24, v4 :: v_dual_fmamk_f32 v18, v18, 0x3f4a47b2, v22
	v_fma_f32 v22, 0x3f3bfb3b, v31, -v22
	v_fma_f32 v31, 0xbf3bfb3b, v31, -v56
	v_add_f32_e32 v4, v97, v77
	v_fmamk_f32 v56, v29, 0xbeae86e6, v30
	v_fma_f32 v29, 0x3eae86e6, v29, -v57
	v_add_f32_e32 v57, v91, v85
	v_fma_f32 v28, 0xbf5ff5aa, v28, -v30
	v_add_f32_e32 v22, v22, v25
	v_add_f32_e32 v18, v18, v25
	;; [unrolled: 1-line block ×3, first 2 shown]
	v_fmac_f32_e32 v29, 0xbee1c552, v23
	v_dual_fmac_f32 v28, 0xbee1c552, v23 :: v_dual_sub_f32 v31, v76, v96
	s_delay_alu instid0(VALU_DEP_1) | instskip(SKIP_2) | instid1(VALU_DEP_1)
	v_dual_add_f32 v30, v28, v22 :: v_dual_add_nc_u32 v85, v123, v133
	v_sub_f32_e32 v22, v22, v28
	v_add_f32_e32 v28, v93, v75
	v_add_f32_e32 v62, v4, v28
	v_sub_f32_e32 v63, v28, v4
	v_sub_f32_e32 v4, v4, v57
	;; [unrolled: 1-line block ×4, first 2 shown]
	v_dual_add_f32 v25, v29, v25 :: v_dual_fmac_f32 v56, 0xbee1c552, v23
	v_dual_add_f32 v57, v62, v57 :: v_dual_sub_f32 v62, v59, v58
	v_sub_f32_e32 v58, v58, v31
	v_sub_f32_e32 v59, v31, v59
	s_delay_alu instid0(VALU_DEP_3) | instskip(NEXT) | instid1(VALU_DEP_4)
	v_dual_add_f32 v31, v31, v64 :: v_dual_add_f32 v64, v57, v67
	v_mul_f32_e32 v62, 0x3f08b237, v62
	v_mul_f32_e32 v28, 0x3d64c772, v28
	;; [unrolled: 1-line block ×4, first 2 shown]
	v_fmamk_f32 v57, v57, 0xbf955555, v64
	v_fma_f32 v58, 0xbf5ff5aa, v58, -v62
	v_fmamk_f32 v4, v4, 0x3f4a47b2, v28
	v_fma_f32 v28, 0x3f3bfb3b, v63, -v28
	v_fma_f32 v63, 0xbf3bfb3b, v63, -v65
	v_fmamk_f32 v65, v59, 0xbeae86e6, v62
	v_fma_f32 v59, 0x3eae86e6, v59, -v67
	s_delay_alu instid0(VALU_DEP_4) | instskip(NEXT) | instid1(VALU_DEP_3)
	v_dual_sub_f32 v23, v18, v56 :: v_dual_add_f32 v28, v28, v57
	v_dual_add_f32 v18, v56, v18 :: v_dual_fmac_f32 v65, 0xbee1c552, v31
	s_delay_alu instid0(VALU_DEP_3) | instskip(SKIP_2) | instid1(VALU_DEP_2)
	v_fmac_f32_e32 v59, 0xbee1c552, v31
	v_fmac_f32_e32 v58, 0xbee1c552, v31
	v_add_f32_e32 v62, v111, v103
	v_dual_add_f32 v67, v109, v107 :: v_dual_add_f32 v56, v58, v28
	v_sub_f32_e32 v28, v28, v58
	v_add_f32_e32 v58, v113, v105
	s_delay_alu instid0(VALU_DEP_1) | instskip(SKIP_2) | instid1(VALU_DEP_3)
	v_add_f32_e32 v72, v58, v62
	v_sub_f32_e32 v73, v62, v58
	v_sub_f32_e32 v58, v58, v67
	v_dual_sub_f32 v62, v67, v62 :: v_dual_add_f32 v67, v72, v67
	v_add_f32_e32 v4, v4, v57
	v_add_f32_e32 v57, v63, v57
	v_dual_sub_f32 v63, v104, v112 :: v_dual_sub_f32 v72, v71, v70
	s_delay_alu instid0(VALU_DEP_4) | instskip(SKIP_1) | instid1(VALU_DEP_4)
	v_mul_f32_e32 v62, 0x3d64c772, v62
	v_mul_f32_e32 v75, 0x3f4a47b2, v58
	v_sub_f32_e32 v31, v57, v59
	s_delay_alu instid0(VALU_DEP_4)
	v_sub_f32_e32 v70, v70, v63
	v_sub_f32_e32 v71, v63, v71
	v_add_f32_e32 v63, v63, v74
	v_add_f32_e32 v74, v67, v99
	v_mul_f32_e32 v72, 0x3f08b237, v72
	v_mul_f32_e32 v76, 0xbf5ff5aa, v70
	v_fmamk_f32 v58, v58, 0x3f4a47b2, v62
	v_fma_f32 v62, 0x3f3bfb3b, v73, -v62
	v_fmamk_f32 v67, v67, 0xbf955555, v74
	v_fma_f32 v73, 0xbf3bfb3b, v73, -v75
	;; [unrolled: 2-line block ×3, first 2 shown]
	v_fma_f32 v70, 0xbf5ff5aa, v70, -v72
	v_add_f32_e32 v58, v58, v67
	v_add_f32_e32 v62, v62, v67
	;; [unrolled: 1-line block ×3, first 2 shown]
	v_fmac_f32_e32 v75, 0xbee1c552, v63
	v_fmac_f32_e32 v71, 0xbee1c552, v63
	v_dual_sub_f32 v29, v4, v65 :: v_dual_fmac_f32 v70, 0xbee1c552, v63
	v_add_f32_e32 v57, v59, v57
	v_add_f32_e32 v59, v65, v4
	v_sub_f32_e32 v63, v58, v75
	v_sub_f32_e32 v65, v67, v71
	ds_store_2addr_b32 v6, v7, v12 offset1:1
	ds_store_2addr_b32 v6, v13, v15 offset0:2 offset1:3
	ds_store_2addr_b32 v6, v8, v0 offset0:4 offset1:5
	ds_store_b32 v6, v1 offset:24
	ds_store_2addr_b32 v26, v11, v5 offset1:1
	ds_store_2addr_b32 v26, v14, v19 offset0:2 offset1:3
	ds_store_2addr_b32 v26, v9, v20 offset0:4 offset1:5
	ds_store_b32 v26, v21 offset:24
	;; [unrolled: 4-line block ×3, first 2 shown]
	v_add_nc_u32_e32 v0, 0, v135
	v_add_f32_e32 v72, v70, v62
	v_dual_sub_f32 v62, v62, v70 :: v_dual_add_f32 v73, v71, v67
	v_add_f32_e32 v4, v75, v58
	ds_store_2addr_b32 v10, v64, v29 offset1:1
	ds_store_2addr_b32 v10, v31, v56 offset0:2 offset1:3
	ds_store_2addr_b32 v10, v28, v57 offset0:4 offset1:5
	ds_store_b32 v10, v59 offset:24
	ds_store_2addr_b32 v0, v74, v63 offset1:1
	ds_store_2addr_b32 v0, v65, v72 offset0:2 offset1:3
	ds_store_2addr_b32 v0, v62, v73 offset0:4 offset1:5
	ds_store_b32 v0, v4 offset:24
	global_wb scope:SCOPE_SE
	s_wait_dscnt 0x0
	s_barrier_signal -1
	s_barrier_wait -1
	global_inv scope:SCOPE_SE
	ds_load_2addr_b32 v[0:1], v98 offset1:175
	ds_load_2addr_b32 v[6:7], v66 offset0:94 offset1:149
	ds_load_2addr_b32 v[8:9], v125 offset0:76 offset1:141
	ds_load_2addr_b32 v[10:11], v124 offset0:188 offset1:243
	ds_load_2addr_b32 v[14:15], v126 offset0:42 offset1:107
	ds_load_2addr_b32 v[28:29], v129 offset0:26 offset1:81
	ds_load_2addr_b32 v[56:57], v129 offset0:136 offset1:201
	ds_load_2addr_b32 v[58:59], v127 offset0:120 offset1:175
	ds_load_2addr_b32 v[64:65], v131 offset0:102 offset1:167
	ds_load_2addr_b32 v[66:67], v132 offset0:86 offset1:141
	ds_load_2addr_b32 v[12:13], v130 offset0:102 offset1:157
	ds_load_2addr_b32 v[20:21], v124 offset0:68 offset1:123
	ds_load_2addr_b32 v[30:31], v126 offset0:162 offset1:217
	ds_load_2addr_b32 v[62:63], v127 offset1:55
	ds_load_2addr_b32 v[70:71], v128 offset0:94 offset1:149
	ds_load_b32 v75, v85
	ds_load_b32 v76, v84
	ds_load_b32 v77, v98 offset:7440
                                        ; implicit-def: $vgpr26
                                        ; implicit-def: $vgpr22
                                        ; implicit-def: $vgpr19
                                        ; implicit-def: $vgpr25
	s_and_saveexec_b32 s1, s0
	s_cbranch_execz .LBB0_17
; %bb.16:
	v_add_nc_u32_e32 v4, 0x500, v98
	v_add_nc_u32_e32 v18, 0xa00, v98
	;; [unrolled: 1-line block ×5, first 2 shown]
	ds_load_b32 v73, v88
	ds_load_2addr_b32 v[4:5], v4 offset0:20 offset1:195
	ds_load_2addr_b32 v[26:27], v18 offset0:50 offset1:225
	ds_load_2addr_b32 v[22:23], v19 offset0:16 offset1:191
	ds_load_2addr_b32 v[24:25], v24 offset0:46 offset1:221
	ds_load_2addr_b32 v[18:19], v72 offset0:76 offset1:251
.LBB0_17:
	s_wait_alu 0xfffe
	s_or_b32 exec_lo, exec_lo, s1
	v_and_b32_e32 v74, 0xff, v114
	v_and_b32_e32 v89, 0xff, v115
	;; [unrolled: 1-line block ×3, first 2 shown]
	s_delay_alu instid0(VALU_DEP_3) | instskip(NEXT) | instid1(VALU_DEP_3)
	v_mul_lo_u16 v74, v74, 37
	v_mul_lo_u16 v89, v89, 37
	s_delay_alu instid0(VALU_DEP_3) | instskip(NEXT) | instid1(VALU_DEP_3)
	v_mul_lo_u16 v90, v72, 37
	v_lshrrev_b16 v74, 8, v74
	s_delay_alu instid0(VALU_DEP_3) | instskip(NEXT) | instid1(VALU_DEP_3)
	v_lshrrev_b16 v89, 8, v89
	v_lshrrev_b16 v90, 8, v90
	s_delay_alu instid0(VALU_DEP_3) | instskip(NEXT) | instid1(VALU_DEP_3)
	v_sub_nc_u16 v91, v114, v74
	v_sub_nc_u16 v92, v115, v89
	s_delay_alu instid0(VALU_DEP_3) | instskip(NEXT) | instid1(VALU_DEP_3)
	v_sub_nc_u16 v93, v116, v90
	v_lshrrev_b16 v91, 1, v91
	s_delay_alu instid0(VALU_DEP_3) | instskip(NEXT) | instid1(VALU_DEP_3)
	v_lshrrev_b16 v92, 1, v92
	v_lshrrev_b16 v93, 1, v93
	s_delay_alu instid0(VALU_DEP_3) | instskip(NEXT) | instid1(VALU_DEP_3)
	v_and_b32_e32 v91, 0x7f, v91
	v_and_b32_e32 v92, 0x7f, v92
	s_delay_alu instid0(VALU_DEP_3) | instskip(NEXT) | instid1(VALU_DEP_3)
	v_and_b32_e32 v93, 0x7f, v93
	v_add_nc_u16 v74, v91, v74
	s_delay_alu instid0(VALU_DEP_3) | instskip(NEXT) | instid1(VALU_DEP_3)
	v_add_nc_u16 v89, v92, v89
	v_add_nc_u16 v90, v93, v90
	s_delay_alu instid0(VALU_DEP_3) | instskip(NEXT) | instid1(VALU_DEP_3)
	v_lshrrev_b16 v129, 2, v74
	v_lshrrev_b16 v127, 2, v89
	s_delay_alu instid0(VALU_DEP_3) | instskip(NEXT) | instid1(VALU_DEP_3)
	v_lshrrev_b16 v125, 2, v90
	v_mul_lo_u16 v74, v129, 7
	s_delay_alu instid0(VALU_DEP_3) | instskip(NEXT) | instid1(VALU_DEP_3)
	v_mul_lo_u16 v89, v127, 7
	v_mul_lo_u16 v90, v125, 7
	v_and_b32_e32 v125, 0xffff, v125
	s_delay_alu instid0(VALU_DEP_4) | instskip(NEXT) | instid1(VALU_DEP_4)
	v_sub_nc_u16 v74, v114, v74
	v_sub_nc_u16 v89, v115, v89
	s_delay_alu instid0(VALU_DEP_4) | instskip(NEXT) | instid1(VALU_DEP_3)
	v_sub_nc_u16 v90, v116, v90
	v_and_b32_e32 v131, 0xff, v74
	s_delay_alu instid0(VALU_DEP_3) | instskip(NEXT) | instid1(VALU_DEP_3)
	v_and_b32_e32 v128, 0xff, v89
	v_and_b32_e32 v126, 0xff, v90
	s_delay_alu instid0(VALU_DEP_3) | instskip(NEXT) | instid1(VALU_DEP_3)
	v_mul_u32_u24_e32 v74, 10, v131
	v_mul_u32_u24_e32 v89, 10, v128
	s_delay_alu instid0(VALU_DEP_3) | instskip(NEXT) | instid1(VALU_DEP_3)
	v_mul_u32_u24_e32 v90, 10, v126
	v_lshlrev_b32_e32 v91, 3, v74
	s_delay_alu instid0(VALU_DEP_3) | instskip(NEXT) | instid1(VALU_DEP_3)
	v_lshlrev_b32_e32 v89, 3, v89
	v_lshlrev_b32_e32 v90, 3, v90
	s_clause 0x5
	global_load_b128 v[104:107], v91, s[8:9] offset:64
	global_load_b128 v[109:112], v89, s[8:9] offset:64
	;; [unrolled: 1-line block ×6, first 2 shown]
	v_and_b32_e32 v74, 0xff, v117
	s_clause 0x4
	global_load_b128 v[151:154], v90, s[8:9] offset:32
	global_load_b128 v[155:158], v89, s[8:9] offset:32
	;; [unrolled: 1-line block ×5, first 2 shown]
	v_mul_lo_u16 v92, v74, 37
	s_clause 0x1
	global_load_b128 v[171:174], v91, s[8:9] offset:16
	global_load_b128 v[175:178], v91, s[8:9]
	v_lshrrev_b16 v92, 8, v92
	s_delay_alu instid0(VALU_DEP_1) | instskip(NEXT) | instid1(VALU_DEP_1)
	v_sub_nc_u16 v93, v117, v92
	v_lshrrev_b16 v93, 1, v93
	s_delay_alu instid0(VALU_DEP_1)
	v_and_b32_e32 v93, 0x7f, v93
	s_wait_loadcnt_dscnt 0xb08
	v_dual_mul_f32 v113, v65, v105 :: v_dual_mul_f32 v102, v67, v112
	s_wait_dscnt 0x3
	v_mul_f32_e32 v99, v70, v110
	s_wait_loadcnt 0x8
	v_mul_f32_e32 v108, v58, v146
	v_add_nc_u16 v92, v93, v92
	s_wait_dscnt 0x0
	v_dual_mul_f32 v93, v77, v138 :: v_dual_fmac_f32 v102, v95, v111
	v_dual_mul_f32 v105, v87, v105 :: v_dual_mul_f32 v124, v66, v107
	s_delay_alu instid0(VALU_DEP_3)
	v_lshrrev_b16 v133, 2, v92
	v_mul_f32_e32 v123, v94, v107
	v_mul_f32_e32 v103, v95, v112
	v_fmac_f32_e32 v99, v100, v109
	s_wait_loadcnt 0x7
	v_mul_f32_e32 v97, v59, v150
	v_mul_lo_u16 v92, v133, 7
	v_mul_f32_e32 v95, v82, v148
	v_fma_f32 v103, v67, v111, -v103
	v_mul_f32_e32 v107, v57, v144
	v_fma_f32 v111, v66, v106, -v123
	v_sub_nc_u16 v91, v117, v92
	v_fmac_f32_e32 v113, v87, v104
	v_fma_f32 v112, v65, v104, -v105
	v_fmac_f32_e32 v93, v122, v137
	s_wait_loadcnt 0x5
	v_dual_mul_f32 v87, v30, v156 :: v_dual_fmac_f32 v108, v80, v145
	v_dual_mul_f32 v91, v101, v136 :: v_dual_and_b32 v134, 0xff, v91
	s_clause 0x1
	global_load_b128 v[179:182], v90, s[8:9]
	global_load_b128 v[183:186], v89, s[8:9]
	v_mul_f32_e32 v90, v71, v136
	v_fmac_f32_e32 v124, v94, v106
	v_mul_u32_u24_e32 v89, 10, v134
	v_fma_f32 v91, v71, v135, -v91
	s_delay_alu instid0(VALU_DEP_4) | instskip(NEXT) | instid1(VALU_DEP_3)
	v_dual_mul_f32 v71, v63, v140 :: v_dual_fmac_f32 v90, v101, v135
	v_dual_mul_f32 v136, v78, v154 :: v_dual_lshlrev_b32 v89, 3, v89
	s_wait_loadcnt 0x5
	v_mul_f32_e32 v65, v14, v166
	s_clause 0x4
	global_load_b128 v[187:190], v89, s[8:9]
	global_load_b128 v[191:194], v89, s[8:9] offset:16
	global_load_b128 v[195:198], v89, s[8:9] offset:32
	;; [unrolled: 1-line block ×4, first 2 shown]
	v_dual_mul_f32 v89, v122, v138 :: v_dual_mul_f32 v122, v83, v140
	v_mul_f32_e32 v96, v62, v148
	v_mul_f32_e32 v135, v79, v144
	;; [unrolled: 1-line block ×3, first 2 shown]
	s_delay_alu instid0(VALU_DEP_4) | instskip(SKIP_4) | instid1(VALU_DEP_4)
	v_fma_f32 v92, v77, v137, -v89
	v_mul_f32_e32 v77, v100, v110
	v_mul_f32_e32 v89, v64, v142
	v_dual_mul_f32 v110, v86, v142 :: v_dual_mul_f32 v137, v69, v152
	v_mul_f32_e32 v104, v15, v160
	v_fma_f32 v101, v70, v109, -v77
	v_mul_f32_e32 v109, v81, v150
	v_mul_f32_e32 v70, v80, v146
	;; [unrolled: 1-line block ×3, first 2 shown]
	v_dual_mul_f32 v140, v68, v156 :: v_dual_fmac_f32 v89, v86, v141
	s_wait_loadcnt 0x9
	v_dual_fmac_f32 v71, v83, v139 :: v_dual_mul_f32 v146, v48, v168
	v_fma_f32 v77, v63, v139, -v122
	s_wait_loadcnt 0x8
	v_dual_mul_f32 v139, v44, v166 :: v_dual_mul_f32 v150, v35, v172
	v_fmac_f32_e32 v97, v81, v149
	v_fma_f32 v81, v59, v149, -v109
	s_wait_loadcnt 0x7
	v_mul_f32_e32 v149, v3, v176
	v_dual_mul_f32 v67, v56, v154 :: v_dual_mul_f32 v144, v49, v164
	v_dual_mul_f32 v105, v28, v162 :: v_dual_mul_f32 v132, v1, v176
	v_mul_f32_e32 v94, v29, v158
	v_fma_f32 v86, v64, v141, -v110
	v_dual_mul_f32 v141, v61, v158 :: v_dual_mul_f32 v100, v20, v168
	v_dual_mul_f32 v142, v60, v162 :: v_dual_mul_f32 v83, v21, v164
	v_mul_f32_e32 v130, v6, v178
	v_fmac_f32_e32 v96, v82, v147
	v_fma_f32 v95, v62, v147, -v95
	v_mul_f32_e32 v82, v11, v170
	v_mul_f32_e32 v147, v39, v170
	v_mul_f32_e32 v109, v10, v174
	v_mul_f32_e32 v148, v38, v174
	v_mul_f32_e32 v122, v9, v172
	v_fma_f32 v123, v58, v145, -v70
	v_fmac_f32_e32 v107, v79, v143
	v_fma_f32 v110, v57, v143, -v135
	v_dual_mul_f32 v135, v32, v178 :: v_dual_fmac_f32 v66, v69, v151
	v_fma_f32 v70, v56, v153, -v136
	v_fma_f32 v31, v31, v151, -v137
	v_fmac_f32_e32 v87, v68, v155
	v_fma_f32 v30, v30, v155, -v140
	v_dual_fmac_f32 v65, v44, v165 :: v_dual_fmac_f32 v132, v3, v175
	v_fma_f32 v44, v9, v171, -v150
	v_fmac_f32_e32 v67, v78, v153
	v_fma_f32 v29, v29, v157, -v141
	v_dual_fmac_f32 v105, v60, v161 :: v_dual_fmac_f32 v122, v35, v171
	v_fma_f32 v28, v28, v161, -v142
	v_fma_f32 v68, v15, v159, -v138
	v_dual_fmac_f32 v83, v49, v163 :: v_dual_fmac_f32 v130, v32, v177
	v_fma_f32 v15, v21, v163, -v144
	v_fma_f32 v21, v10, v173, -v148
	;; [unrolled: 1-line block ×4, first 2 shown]
	v_lshlrev_b32_e32 v131, 2, v131
	global_wb scope:SCOPE_SE
	s_wait_loadcnt 0x0
	s_barrier_signal -1
	s_barrier_wait -1
	global_inv scope:SCOPE_SE
	v_fmac_f32_e32 v94, v61, v157
	v_fmac_f32_e32 v104, v45, v159
	;; [unrolled: 1-line block ×4, first 2 shown]
	v_mul_f32_e32 v152, v37, v180
	v_mul_f32_e32 v106, v12, v184
	;; [unrolled: 1-line block ×5, first 2 shown]
	v_fma_f32 v1, v1, v175, -v149
	v_mul_f32_e32 v80, v8, v182
	v_dual_mul_f32 v143, v34, v182 :: v_dual_mul_f32 v78, v13, v180
	v_fma_f32 v9, v13, v179, -v152
	v_dual_mul_f32 v64, v4, v188 :: v_dual_mul_f32 v137, v17, v190
	v_mul_f32_e32 v69, v16, v188
	v_dual_mul_f32 v63, v5, v190 :: v_dual_mul_f32 v56, v22, v196
	v_dual_mul_f32 v155, v47, v206 :: v_dual_fmac_f32 v106, v36, v183
	v_mul_f32_e32 v62, v26, v192
	v_dual_mul_f32 v151, v54, v192 :: v_dual_mul_f32 v142, v53, v202
	v_mul_f32_e32 v58, v27, v194
	v_dual_mul_f32 v140, v55, v194 :: v_dual_mul_f32 v141, v50, v196
	v_dual_mul_f32 v57, v23, v198 :: v_dual_mul_f32 v138, v46, v204
	v_mul_f32_e32 v153, v51, v198
	v_mul_f32_e32 v59, v24, v200
	;; [unrolled: 1-line block ×3, first 2 shown]
	v_dual_mul_f32 v60, v25, v202 :: v_dual_mul_f32 v45, v18, v204
	v_dual_fmac_f32 v78, v37, v179 :: v_dual_mul_f32 v61, v19, v206
	v_fmac_f32_e32 v80, v34, v181
	v_dual_fmac_f32 v109, v38, v173 :: v_dual_fmac_f32 v64, v16, v187
	v_fma_f32 v12, v12, v183, -v145
	v_dual_fmac_f32 v79, v33, v185 :: v_dual_fmac_f32 v62, v54, v191
	v_fma_f32 v10, v7, v185, -v136
	v_fma_f32 v13, v6, v177, -v135
	;; [unrolled: 1-line block ×4, first 2 shown]
	v_dual_sub_f32 v5, v1, v111 :: v_dual_add_f32 v16, v130, v113
	v_sub_f32_e32 v19, v44, v123
	v_fma_f32 v39, v4, v187, -v69
	v_dual_fmac_f32 v63, v17, v189 :: v_dual_fmac_f32 v56, v50, v195
	v_fma_f32 v34, v26, v191, -v151
	v_dual_fmac_f32 v58, v55, v193 :: v_dual_fmac_f32 v59, v52, v199
	v_fma_f32 v32, v27, v193, -v140
	v_dual_fmac_f32 v57, v51, v197 :: v_dual_add_f32 v4, v132, v124
	v_fma_f32 v7, v23, v197, -v153
	v_fma_f32 v33, v24, v199, -v154
	v_dual_fmac_f32 v60, v53, v201 :: v_dual_fmac_f32 v45, v46, v203
	v_fma_f32 v37, v18, v203, -v138
	v_dual_fmac_f32 v61, v47, v205 :: v_dual_add_f32 v18, v122, v108
	v_add_f32_e32 v3, v2, v132
	v_dual_sub_f32 v17, v13, v112 :: v_dual_sub_f32 v26, v12, v103
	v_dual_sub_f32 v23, v21, v110 :: v_dual_sub_f32 v24, v68, v28
	v_dual_sub_f32 v46, v10, v101 :: v_dual_add_f32 v47, v79, v99
	v_mul_f32_e32 v52, 0xbf68dda4, v5
	v_dual_mul_f32 v51, 0xbf0a6770, v5 :: v_dual_mul_f32 v140, 0xbf0a6770, v19
	s_delay_alu instid0(VALU_DEP_4)
	v_dual_mul_f32 v139, 0x3f68dda4, v19 :: v_dual_mul_f32 v148, 0x3f68dda4, v24
	v_fma_f32 v11, v11, v169, -v147
	v_fma_f32 v6, v22, v195, -v141
	;; [unrolled: 1-line block ×3, first 2 shown]
	v_dual_add_f32 v22, v109, v107 :: v_dual_add_f32 v25, v104, v105
	v_add_f32_e32 v48, v121, v106
	v_dual_add_f32 v27, v106, v102 :: v_dual_add_f32 v50, v100, v97
	v_dual_sub_f32 v49, v20, v81 :: v_dual_mul_f32 v138, 0x3e903f40, v19
	v_mul_f32_e32 v53, 0xbf7d64f0, v5
	v_mul_f32_e32 v54, 0xbf4178ce, v5
	v_dual_mul_f32 v5, 0xbe903f40, v5 :: v_dual_mul_f32 v144, 0xbe903f40, v23
	v_dual_mul_f32 v69, 0xbf4178ce, v17 :: v_dual_mul_f32 v152, 0xbf4178ce, v26
	v_dual_mul_f32 v136, 0x3f7d64f0, v17 :: v_dual_add_f32 v3, v3, v130
	v_mul_f32_e32 v151, 0xbf7d64f0, v26
	v_dual_fmamk_f32 v158, v4, 0x3f575c64, v51 :: v_dual_fmamk_f32 v169, v18, 0x3f575c64, v140
	v_mul_f32_e32 v137, 0xbf7d64f0, v19
	v_mul_f32_e32 v19, 0xbf4178ce, v19
	v_dual_fmamk_f32 v159, v4, 0x3ed4b147, v52 :: v_dual_fmamk_f32 v168, v18, 0x3ed4b147, v139
	v_mul_f32_e32 v147, 0xbf4178ce, v24
	v_fma_f32 v8, v8, v181, -v143
	v_dual_mul_f32 v55, 0xbf68dda4, v17 :: v_dual_mul_f32 v150, 0xbf68dda4, v26
	v_dual_mul_f32 v135, 0x3e903f40, v17 :: v_dual_add_f32 v48, v48, v79
	v_dual_mul_f32 v17, 0x3f0a6770, v17 :: v_dual_mul_f32 v146, 0x3f0a6770, v24
	v_dual_mul_f32 v141, 0xbf4178ce, v23 :: v_dual_mul_f32 v154, 0xbf4178ce, v46
	v_dual_mul_f32 v142, 0x3f7d64f0, v23 :: v_dual_add_f32 v3, v3, v122
	v_mul_f32_e32 v145, 0xbe903f40, v24
	v_mul_f32_e32 v24, 0xbf7d64f0, v24
	;; [unrolled: 1-line block ×3, first 2 shown]
	v_fma_f32 v51, 0x3f575c64, v4, -v51
	v_fma_f32 v52, 0x3ed4b147, v4, -v52
	v_mul_f32_e32 v143, 0xbf0a6770, v23
	v_dual_fmamk_f32 v160, v4, 0xbe11bafb, v53 :: v_dual_fmamk_f32 v171, v22, 0xbe11bafb, v142
	v_fma_f32 v53, 0xbe11bafb, v4, -v53
	v_dual_fmamk_f32 v161, v4, 0xbf27a4f4, v54 :: v_dual_fmamk_f32 v170, v18, 0xbf27a4f4, v19
	v_mul_f32_e32 v23, 0x3f68dda4, v23
	v_fma_f32 v54, 0xbf27a4f4, v4, -v54
	v_dual_fmamk_f32 v162, v4, 0xbf75a155, v5 :: v_dual_fmamk_f32 v167, v18, 0xbf75a155, v138
	v_fma_f32 v4, 0xbf75a155, v4, -v5
	v_mul_f32_e32 v149, 0xbf0a6770, v26
	v_mul_f32_e32 v26, 0xbe903f40, v26
	v_dual_fmamk_f32 v165, v16, 0xbe11bafb, v136 :: v_dual_fmamk_f32 v180, v27, 0xbe11bafb, v151
	v_mul_f32_e32 v153, 0xbf68dda4, v46
	v_dual_fmamk_f32 v176, v25, 0xbf27a4f4, v147 :: v_dual_fmamk_f32 v181, v27, 0xbf27a4f4, v152
	v_fma_f32 v152, 0xbf27a4f4, v27, -v152
	v_mul_f32_e32 v155, 0x3e903f40, v46
	v_dual_mul_f32 v46, 0x3f0a6770, v46 :: v_dual_add_f32 v51, v2, v51
	v_dual_mul_f32 v157, 0xbf7d64f0, v49 :: v_dual_add_f32 v54, v2, v54
	v_dual_fmamk_f32 v164, v16, 0xbf75a155, v135 :: v_dual_fmamk_f32 v173, v22, 0xbf75a155, v144
	v_fma_f32 v135, 0xbf75a155, v16, -v135
	v_fma_f32 v136, 0xbe11bafb, v16, -v136
	v_dual_fmamk_f32 v166, v16, 0x3f575c64, v17 :: v_dual_fmamk_f32 v175, v25, 0x3f575c64, v146
	v_fma_f32 v138, 0xbf75a155, v18, -v138
	v_fma_f32 v139, 0x3ed4b147, v18, -v139
	;; [unrolled: 1-line block ×5, first 2 shown]
	v_dual_fmamk_f32 v174, v22, 0x3ed4b147, v23 :: v_dual_fmamk_f32 v177, v25, 0x3ed4b147, v148
	v_fma_f32 v146, 0x3f575c64, v25, -v146
	v_fma_f32 v147, 0xbf27a4f4, v25, -v147
	;; [unrolled: 1-line block ×3, first 2 shown]
	v_fmamk_f32 v178, v25, 0xbe11bafb, v24
	v_fma_f32 v24, 0xbe11bafb, v25, -v24
	v_dual_fmamk_f32 v179, v27, 0x3ed4b147, v150 :: v_dual_add_f32 v54, v136, v54
	v_fma_f32 v150, 0x3ed4b147, v27, -v150
	v_fmamk_f32 v5, v16, 0x3ed4b147, v55
	v_fma_f32 v55, 0x3ed4b147, v16, -v55
	v_fma_f32 v151, 0xbe11bafb, v27, -v151
	v_fmamk_f32 v182, v27, 0xbf75a155, v26
	v_fmamk_f32 v163, v16, 0xbf27a4f4, v69
	v_fma_f32 v69, 0xbf27a4f4, v16, -v69
	v_fma_f32 v16, 0x3f575c64, v16, -v17
	v_fmamk_f32 v17, v18, 0xbe11bafb, v137
	v_fma_f32 v137, 0xbe11bafb, v18, -v137
	v_fma_f32 v18, 0xbf27a4f4, v18, -v19
	;; [unrolled: 1-line block ×3, first 2 shown]
	v_fmamk_f32 v19, v22, 0xbf27a4f4, v141
	v_fma_f32 v141, 0xbf27a4f4, v22, -v141
	v_fmamk_f32 v185, v47, 0xbe11bafb, v156
	v_fma_f32 v156, 0xbe11bafb, v47, -v156
	;; [unrolled: 2-line block ×3, first 2 shown]
	v_add_f32_e32 v52, v2, v52
	v_fmamk_f32 v172, v22, 0x3f575c64, v143
	v_fma_f32 v143, 0x3f575c64, v22, -v143
	v_fma_f32 v22, 0x3ed4b147, v22, -v23
	v_fmamk_f32 v23, v25, 0xbf75a155, v145
	v_fma_f32 v145, 0xbf75a155, v25, -v145
	v_dual_fmamk_f32 v25, v27, 0x3f575c64, v149 :: v_dual_add_f32 v52, v69, v52
	v_fma_f32 v149, 0x3f575c64, v27, -v149
	v_fmamk_f32 v27, v47, 0x3ed4b147, v153
	v_fma_f32 v153, 0x3ed4b147, v47, -v153
	v_fmamk_f32 v183, v47, 0xbf27a4f4, v154
	v_fma_f32 v154, 0xbf27a4f4, v47, -v154
	v_dual_add_f32 v53, v2, v53 :: v_dual_add_f32 v152, v121, v152
	v_fmamk_f32 v184, v47, 0xbf75a155, v155
	v_fma_f32 v155, 0xbf75a155, v47, -v155
	v_dual_add_f32 v47, v48, v100 :: v_dual_add_f32 v48, v2, v158
	v_add_f32_e32 v158, v2, v159
	v_add_f32_e32 v159, v2, v160
	;; [unrolled: 1-line block ×8, first 2 shown]
	s_delay_alu instid0(VALU_DEP_4) | instskip(SKIP_3) | instid1(VALU_DEP_4)
	v_dual_add_f32 v5, v5, v48 :: v_dual_add_f32 v2, v16, v2
	v_add_f32_e32 v3, v3, v109
	v_add_f32_e32 v48, v55, v51
	;; [unrolled: 1-line block ×3, first 2 shown]
	v_dual_add_f32 v55, v164, v159 :: v_dual_add_f32 v2, v18, v2
	v_add_f32_e32 v4, v121, v25
	v_add_f32_e32 v25, v121, v149
	v_dual_add_f32 v53, v135, v53 :: v_dual_add_f32 v26, v121, v26
	s_delay_alu instid0(VALU_DEP_4) | instskip(SKIP_3) | instid1(VALU_DEP_4)
	v_dual_add_f32 v2, v22, v2 :: v_dual_add_f32 v5, v17, v5
	v_dual_add_f32 v17, v137, v48 :: v_dual_add_f32 v48, v167, v51
	;; [unrolled: 1-line block ×3, first 2 shown]
	v_add_f32_e32 v47, v47, v82
	v_dual_add_f32 v2, v24, v2 :: v_dual_add_f32 v5, v19, v5
	s_delay_alu instid0(VALU_DEP_4) | instskip(NEXT) | instid1(VALU_DEP_3)
	v_add_f32_e32 v19, v171, v48
	v_dual_add_f32 v48, v172, v52 :: v_dual_add_f32 v47, v47, v87
	v_dual_add_f32 v149, v121, v179 :: v_dual_add_f32 v4, v27, v4
	;; [unrolled: 1-line block ×3, first 2 shown]
	s_delay_alu instid0(VALU_DEP_3) | instskip(SKIP_1) | instid1(VALU_DEP_3)
	v_dual_add_f32 v18, v47, v94 :: v_dual_add_f32 v47, v142, v51
	v_add_f32_e32 v69, v165, v160
	v_dual_add_f32 v179, v121, v181 :: v_dual_add_f32 v136, v155, v151
	v_add_f32_e32 v26, v46, v26
	s_delay_alu instid0(VALU_DEP_3) | instskip(SKIP_3) | instid1(VALU_DEP_4)
	v_dual_add_f32 v22, v146, v47 :: v_dual_add_f32 v55, v169, v69
	v_add_f32_e32 v53, v139, v53
	v_add_f32_e32 v5, v23, v5
	v_dual_add_f32 v23, v176, v48 :: v_dual_add_f32 v16, v153, v25
	v_dual_add_f32 v52, v173, v55 :: v_dual_add_f32 v121, v166, v161
	;; [unrolled: 1-line block ×3, first 2 shown]
	v_add_f32_e32 v149, v185, v179
	s_delay_alu instid0(VALU_DEP_3) | instskip(SKIP_3) | instid1(VALU_DEP_4)
	v_dual_add_f32 v48, v177, v52 :: v_dual_add_f32 v69, v170, v121
	v_add_f32_e32 v135, v184, v162
	v_add_f32_e32 v51, v143, v53
	v_dual_add_f32 v53, v144, v54 :: v_dual_add_f32 v18, v18, v97
	v_dual_add_f32 v54, v174, v69 :: v_dual_add_f32 v3, v3, v104
	v_mul_f32_e32 v55, 0x3e903f40, v49
	v_dual_add_f32 v27, v154, v150 :: v_dual_add_f32 v24, v156, v152
	s_delay_alu instid0(VALU_DEP_3) | instskip(SKIP_3) | instid1(VALU_DEP_3)
	v_add_f32_e32 v52, v178, v54
	v_fmamk_f32 v54, v50, 0xbe11bafb, v157
	v_dual_add_f32 v18, v18, v99 :: v_dual_add_f32 v3, v3, v105
	v_fma_f32 v46, 0xbe11bafb, v50, -v157
	v_dual_add_f32 v143, v80, v90 :: v_dual_add_f32 v4, v54, v4
	v_fmamk_f32 v54, v50, 0xbf75a155, v55
	s_delay_alu instid0(VALU_DEP_4) | instskip(NEXT) | instid1(VALU_DEP_4)
	v_dual_add_f32 v18, v18, v102 :: v_dual_add_f32 v17, v141, v17
	v_add_f32_e32 v16, v46, v16
	v_fma_f32 v55, 0xbf75a155, v50, -v55
	s_delay_alu instid0(VALU_DEP_4) | instskip(SKIP_1) | instid1(VALU_DEP_3)
	v_add_f32_e32 v25, v54, v25
	v_dual_mul_f32 v54, 0xbf0a6770, v49 :: v_dual_sub_f32 v141, v8, v91
	v_add_f32_e32 v27, v55, v27
	s_delay_alu instid0(VALU_DEP_2) | instskip(SKIP_1) | instid1(VALU_DEP_4)
	v_fmamk_f32 v121, v50, 0x3f575c64, v54
	v_fma_f32 v54, 0x3f575c64, v50, -v54
	v_dual_add_f32 v3, v3, v107 :: v_dual_mul_f32 v144, 0xbf68dda4, v141
	v_mul_f32_e32 v146, 0xbf4178ce, v141
	s_delay_alu instid0(VALU_DEP_3) | instskip(SKIP_1) | instid1(VALU_DEP_2)
	v_dual_add_f32 v24, v54, v24 :: v_dual_mul_f32 v69, 0x3f68dda4, v49
	v_mul_f32_e32 v49, 0xbf4178ce, v49
	v_fmamk_f32 v46, v50, 0x3ed4b147, v69
	v_fma_f32 v69, 0x3ed4b147, v50, -v69
	s_delay_alu instid0(VALU_DEP_3) | instskip(SKIP_1) | instid1(VALU_DEP_4)
	v_fmamk_f32 v137, v50, 0xbf27a4f4, v49
	v_fma_f32 v49, 0xbf27a4f4, v50, -v49
	v_dual_add_f32 v3, v3, v108 :: v_dual_add_f32 v46, v46, v135
	s_delay_alu instid0(VALU_DEP_4) | instskip(SKIP_4) | instid1(VALU_DEP_4)
	v_add_f32_e32 v55, v69, v136
	v_sub_f32_e32 v69, v11, v95
	v_add_f32_e32 v135, v82, v96
	v_add_f32_e32 v19, v175, v19
	v_dual_add_f32 v47, v147, v51 :: v_dual_add_f32 v26, v49, v26
	v_mul_f32_e32 v136, 0xbf4178ce, v69
	v_mul_f32_e32 v49, 0xbf0a6770, v69
	s_delay_alu instid0(VALU_DEP_2) | instskip(SKIP_2) | instid1(VALU_DEP_3)
	v_fmamk_f32 v50, v135, 0xbf27a4f4, v136
	v_fma_f32 v54, 0xbf27a4f4, v135, -v136
	v_mul_f32_e32 v136, 0x3f7d64f0, v69
	v_dual_add_f32 v17, v145, v17 :: v_dual_add_f32 v4, v50, v4
	s_delay_alu instid0(VALU_DEP_3) | instskip(NEXT) | instid1(VALU_DEP_3)
	v_add_f32_e32 v16, v54, v16
	v_fmamk_f32 v50, v135, 0xbe11bafb, v136
	v_fma_f32 v54, 0xbe11bafb, v135, -v136
	v_mul_f32_e32 v136, 0xbe903f40, v69
	v_add_f32_e32 v51, v148, v53
	v_add_f32_e32 v53, v186, v180
	;; [unrolled: 1-line block ×3, first 2 shown]
	v_dual_add_f32 v27, v54, v27 :: v_dual_mul_f32 v54, 0x3f68dda4, v69
	v_sub_f32_e32 v69, v30, v29
	s_delay_alu instid0(VALU_DEP_4) | instskip(SKIP_3) | instid1(VALU_DEP_3)
	v_add_f32_e32 v53, v137, v53
	v_fmamk_f32 v137, v135, 0x3f575c64, v49
	v_fma_f32 v49, 0x3f575c64, v135, -v49
	v_fmamk_f32 v50, v135, 0xbf75a155, v136
	v_add_f32_e32 v46, v137, v46
	s_delay_alu instid0(VALU_DEP_3) | instskip(SKIP_2) | instid1(VALU_DEP_2)
	v_add_f32_e32 v49, v49, v55
	v_fma_f32 v55, 0xbf75a155, v135, -v136
	v_fmamk_f32 v136, v135, 0x3ed4b147, v54
	v_dual_mul_f32 v137, 0xbe903f40, v69 :: v_dual_add_f32 v24, v55, v24
	v_add_f32_e32 v55, v87, v94
	s_delay_alu instid0(VALU_DEP_1) | instskip(SKIP_2) | instid1(VALU_DEP_3)
	v_dual_add_f32 v53, v136, v53 :: v_dual_fmamk_f32 v136, v55, 0xbf75a155, v137
	v_fma_f32 v54, 0x3ed4b147, v135, -v54
	v_mul_f32_e32 v135, 0x3f0a6770, v69
	v_dual_add_f32 v3, v3, v113 :: v_dual_add_f32 v4, v136, v4
	s_delay_alu instid0(VALU_DEP_3) | instskip(NEXT) | instid1(VALU_DEP_3)
	v_add_f32_e32 v26, v54, v26
	v_dual_fmamk_f32 v54, v55, 0x3f575c64, v135 :: v_dual_add_f32 v121, v121, v149
	s_delay_alu instid0(VALU_DEP_3) | instskip(NEXT) | instid1(VALU_DEP_2)
	v_dual_add_f32 v3, v3, v124 :: v_dual_mul_f32 v136, 0xbf4178ce, v69
	v_add_f32_e32 v25, v54, v25
	s_delay_alu instid0(VALU_DEP_3) | instskip(SKIP_3) | instid1(VALU_DEP_4)
	v_dual_add_f32 v50, v50, v121 :: v_dual_add_f32 v121, v120, v78
	v_fma_f32 v54, 0x3f575c64, v55, -v135
	v_mul_f32_e32 v135, 0x3f68dda4, v69
	v_mul_f32_e32 v69, 0xbf7d64f0, v69
	v_add_f32_e32 v121, v121, v80
	s_delay_alu instid0(VALU_DEP_4) | instskip(NEXT) | instid1(VALU_DEP_2)
	v_add_f32_e32 v27, v54, v27
	v_add_f32_e32 v121, v121, v83
	s_delay_alu instid0(VALU_DEP_1) | instskip(NEXT) | instid1(VALU_DEP_1)
	v_add_f32_e32 v121, v121, v65
	v_add_f32_e32 v121, v121, v66
	s_delay_alu instid0(VALU_DEP_1) | instskip(NEXT) | instid1(VALU_DEP_1)
	v_dual_add_f32 v54, v121, v67 :: v_dual_fmamk_f32 v121, v55, 0x3ed4b147, v135
	v_add_f32_e32 v54, v54, v71
	s_delay_alu instid0(VALU_DEP_2) | instskip(SKIP_1) | instid1(VALU_DEP_3)
	v_add_f32_e32 v50, v121, v50
	v_fma_f32 v121, 0x3ed4b147, v55, -v135
	v_dual_sub_f32 v135, v9, v92 :: v_dual_add_f32 v54, v54, v89
	s_delay_alu instid0(VALU_DEP_2) | instskip(NEXT) | instid1(VALU_DEP_2)
	v_add_f32_e32 v24, v121, v24
	v_mul_f32_e32 v140, 0xbf4178ce, v135
	v_fma_f32 v137, 0xbf75a155, v55, -v137
	s_delay_alu instid0(VALU_DEP_4) | instskip(NEXT) | instid1(VALU_DEP_2)
	v_dual_add_f32 v54, v54, v90 :: v_dual_mul_f32 v121, 0xbf68dda4, v135
	v_dual_add_f32 v16, v137, v16 :: v_dual_fmamk_f32 v137, v55, 0xbf27a4f4, v136
	v_fma_f32 v136, 0xbf27a4f4, v55, -v136
	s_delay_alu instid0(VALU_DEP_3) | instskip(NEXT) | instid1(VALU_DEP_2)
	v_add_f32_e32 v54, v54, v93
	v_dual_add_f32 v46, v137, v46 :: v_dual_add_f32 v49, v136, v49
	v_fmamk_f32 v136, v55, 0xbe11bafb, v69
	v_fma_f32 v55, 0xbe11bafb, v55, -v69
	v_add_f32_e32 v69, v78, v93
	s_delay_alu instid0(VALU_DEP_2) | instskip(NEXT) | instid1(VALU_DEP_2)
	v_dual_mul_f32 v137, 0xbf0a6770, v135 :: v_dual_add_f32 v26, v55, v26
	v_dual_fmamk_f32 v142, v69, 0xbf27a4f4, v140 :: v_dual_add_f32 v53, v136, v53
	s_delay_alu instid0(VALU_DEP_2)
	v_fmamk_f32 v55, v69, 0x3f575c64, v137
	v_fma_f32 v136, 0x3f575c64, v69, -v137
	v_mul_f32_e32 v137, 0xbf7d64f0, v135
	v_mul_f32_e32 v135, 0xbe903f40, v135
	v_fmamk_f32 v138, v69, 0x3ed4b147, v121
	v_fma_f32 v121, 0x3ed4b147, v69, -v121
	v_fma_f32 v140, 0xbf27a4f4, v69, -v140
	v_fmamk_f32 v139, v69, 0xbe11bafb, v137
	v_fma_f32 v137, 0xbe11bafb, v69, -v137
	v_fmamk_f32 v145, v69, 0xbf75a155, v135
	v_fma_f32 v69, 0xbf75a155, v69, -v135
	v_add_f32_e32 v55, v120, v55
	v_add_f32_e32 v136, v120, v136
	;; [unrolled: 1-line block ×7, first 2 shown]
	v_dual_add_f32 v140, v120, v140 :: v_dual_fmamk_f32 v135, v143, 0x3ed4b147, v144
	v_add_f32_e32 v145, v120, v145
	v_fma_f32 v144, 0x3ed4b147, v143, -v144
	v_add_f32_e32 v69, v120, v69
	s_delay_alu instid0(VALU_DEP_4) | instskip(NEXT) | instid1(VALU_DEP_3)
	v_dual_mul_f32 v120, 0x3e903f40, v141 :: v_dual_add_f32 v55, v135, v55
	v_dual_fmamk_f32 v135, v143, 0xbf27a4f4, v146 :: v_dual_add_f32 v136, v144, v136
	v_fma_f32 v144, 0xbf27a4f4, v143, -v146
	v_mul_f32_e32 v146, 0x3f7d64f0, v141
	s_delay_alu instid0(VALU_DEP_4) | instskip(SKIP_4) | instid1(VALU_DEP_4)
	v_fmamk_f32 v147, v143, 0xbf75a155, v120
	v_fma_f32 v120, 0xbf75a155, v143, -v120
	v_add_f32_e32 v135, v135, v138
	v_mul_f32_e32 v141, 0x3f0a6770, v141
	v_dual_fmamk_f32 v138, v143, 0xbe11bafb, v146 :: v_dual_add_f32 v121, v144, v121
	v_dual_add_f32 v120, v120, v137 :: v_dual_sub_f32 v137, v15, v86
	s_delay_alu instid0(VALU_DEP_2)
	v_dual_add_f32 v139, v147, v139 :: v_dual_add_f32 v138, v138, v142
	v_fma_f32 v142, 0xbe11bafb, v143, -v146
	v_fmamk_f32 v144, v143, 0x3f575c64, v141
	v_add_f32_e32 v146, v83, v89
	v_mul_f32_e32 v147, 0xbf7d64f0, v137
	v_fma_f32 v141, 0x3f575c64, v143, -v141
	v_add_f32_e32 v140, v142, v140
	v_add_f32_e32 v142, v144, v145
	v_mul_f32_e32 v143, 0x3e903f40, v137
	v_mul_f32_e32 v145, 0x3f68dda4, v137
	v_add_f32_e32 v69, v141, v69
	v_fma_f32 v141, 0xbe11bafb, v146, -v147
	v_fmamk_f32 v144, v146, 0xbe11bafb, v147
	v_fmamk_f32 v147, v146, 0xbf75a155, v143
	v_fma_f32 v143, 0xbf75a155, v146, -v143
	s_delay_alu instid0(VALU_DEP_4) | instskip(NEXT) | instid1(VALU_DEP_4)
	v_dual_add_f32 v136, v141, v136 :: v_dual_fmamk_f32 v141, v146, 0x3ed4b147, v145
	v_add_f32_e32 v55, v144, v55
	v_fma_f32 v144, 0x3ed4b147, v146, -v145
	s_delay_alu instid0(VALU_DEP_4)
	v_add_f32_e32 v121, v143, v121
	v_mul_f32_e32 v143, 0xbf0a6770, v137
	v_add_f32_e32 v139, v141, v139
	v_mul_f32_e32 v137, 0xbf4178ce, v137
	v_sub_f32_e32 v141, v14, v77
	v_dual_add_f32 v135, v147, v135 :: v_dual_add_f32 v120, v144, v120
	v_fmamk_f32 v144, v146, 0x3f575c64, v143
	v_fma_f32 v143, 0x3f575c64, v146, -v143
	v_fmamk_f32 v145, v146, 0xbf27a4f4, v137
	v_dual_add_f32 v147, v65, v71 :: v_dual_mul_f32 v148, 0xbf4178ce, v141
	v_fma_f32 v137, 0xbf27a4f4, v146, -v137
	v_add_f32_e32 v138, v144, v138
	v_add_f32_e32 v140, v143, v140
	s_delay_alu instid0(VALU_DEP_4)
	v_dual_add_f32 v142, v145, v142 :: v_dual_fmamk_f32 v143, v147, 0xbf27a4f4, v148
	v_mul_f32_e32 v144, 0x3f7d64f0, v141
	v_add_f32_e32 v69, v137, v69
	v_fma_f32 v137, 0xbf27a4f4, v147, -v148
	v_mul_f32_e32 v145, 0xbf0a6770, v141
	v_add_f32_e32 v55, v143, v55
	v_fmamk_f32 v143, v147, 0xbe11bafb, v144
	v_fma_f32 v144, 0xbe11bafb, v147, -v144
	s_delay_alu instid0(VALU_DEP_4) | instskip(SKIP_1) | instid1(VALU_DEP_4)
	v_dual_add_f32 v136, v137, v136 :: v_dual_fmamk_f32 v137, v147, 0x3f575c64, v145
	v_fma_f32 v145, 0x3f575c64, v147, -v145
	v_add_f32_e32 v135, v143, v135
	v_mul_f32_e32 v143, 0xbe903f40, v141
	v_mul_f32_e32 v141, 0x3f68dda4, v141
	v_add_f32_e32 v137, v137, v139
	v_sub_f32_e32 v139, v31, v70
	v_dual_add_f32 v121, v144, v121 :: v_dual_add_f32 v120, v145, v120
	v_fmamk_f32 v144, v147, 0xbf75a155, v143
	v_fma_f32 v143, 0xbf75a155, v147, -v143
	v_add_f32_e32 v145, v66, v67
	v_mul_f32_e32 v146, 0xbe903f40, v139
	v_fmamk_f32 v148, v147, 0x3ed4b147, v141
	v_fma_f32 v141, 0x3ed4b147, v147, -v141
	v_add_f32_e32 v138, v144, v138
	s_delay_alu instid0(VALU_DEP_4)
	v_dual_add_f32 v140, v143, v140 :: v_dual_fmamk_f32 v143, v145, 0xbf75a155, v146
	v_mul_f32_e32 v144, 0x3f0a6770, v139
	v_fma_f32 v146, 0xbf75a155, v145, -v146
	v_add_f32_e32 v69, v141, v69
	v_mul_f32_e32 v141, 0xbf4178ce, v139
	v_add_f32_e32 v55, v143, v55
	s_delay_alu instid0(VALU_DEP_4)
	v_dual_fmamk_f32 v143, v145, 0x3f575c64, v144 :: v_dual_add_f32 v136, v146, v136
	v_fma_f32 v144, 0x3f575c64, v145, -v144
	v_mul_f32_e32 v146, 0x3f68dda4, v139
	v_fmamk_f32 v147, v145, 0xbf27a4f4, v141
	v_fma_f32 v141, 0xbf27a4f4, v145, -v141
	v_add_f32_e32 v135, v143, v135
	v_add_f32_e32 v143, v144, v121
	v_fmamk_f32 v121, v145, 0x3ed4b147, v146
	v_mul_f32_e32 v139, 0xbf7d64f0, v139
	v_dual_add_f32 v141, v141, v120 :: v_dual_and_b32 v120, 0xffff, v129
	v_add_f32_e32 v142, v148, v142
	s_delay_alu instid0(VALU_DEP_4) | instskip(NEXT) | instid1(VALU_DEP_4)
	v_add_f32_e32 v129, v121, v138
	v_fmamk_f32 v138, v145, 0xbe11bafb, v139
	v_fma_f32 v121, 0x3ed4b147, v145, -v146
	v_mul_u32_u24_e32 v120, 0x134, v120
	v_fma_f32 v139, 0xbe11bafb, v145, -v139
	s_delay_alu instid0(VALU_DEP_4) | instskip(NEXT) | instid1(VALU_DEP_4)
	v_dual_add_f32 v137, v147, v137 :: v_dual_add_f32 v138, v138, v142
	v_add_f32_e32 v140, v121, v140
	s_delay_alu instid0(VALU_DEP_4)
	v_add3_u32 v120, 0, v120, v131
	v_and_b32_e32 v121, 0xffff, v127
	v_add_f32_e32 v69, v139, v69
	ds_store_2addr_b32 v120, v3, v5 offset1:7
	v_mul_u32_u24_e32 v3, 0x134, v121
	v_lshlrev_b32_e32 v5, 2, v128
	ds_store_2addr_b32 v120, v19, v23 offset0:14 offset1:21
	ds_store_2addr_b32 v120, v48, v52 offset0:28 offset1:35
	;; [unrolled: 1-line block ×3, first 2 shown]
	v_mul_u32_u24_e32 v2, 0x134, v125
	v_add3_u32 v121, 0, v3, v5
	v_lshlrev_b32_e32 v3, 2, v126
	ds_store_2addr_b32 v120, v47, v22 offset0:56 offset1:63
	ds_store_b32 v120, v17 offset:280
	ds_store_2addr_b32 v121, v18, v4 offset1:7
	ds_store_2addr_b32 v121, v25, v46 offset0:14 offset1:21
	v_and_b32_e32 v47, 0xffff, v133
	v_lshlrev_b32_e32 v46, 2, v134
	v_add3_u32 v125, 0, v2, v3
	ds_store_2addr_b32 v121, v50, v53 offset0:28 offset1:35
	ds_store_2addr_b32 v121, v26, v24 offset0:42 offset1:49
	;; [unrolled: 1-line block ×3, first 2 shown]
	ds_store_b32 v121, v16 offset:280
	ds_store_2addr_b32 v125, v54, v55 offset1:7
	ds_store_2addr_b32 v125, v135, v137 offset0:14 offset1:21
	ds_store_2addr_b32 v125, v129, v138 offset0:28 offset1:35
	;; [unrolled: 1-line block ×4, first 2 shown]
	ds_store_b32 v125, v136 offset:280
	s_and_saveexec_b32 s1, s0
	s_cbranch_execz .LBB0_19
; %bb.18:
	v_dual_sub_f32 v2, v39, v36 :: v_dual_add_f32 v3, v64, v61
	v_add_f32_e32 v4, v63, v45
	v_dual_sub_f32 v18, v34, v35 :: v_dual_add_f32 v25, v56, v57
	s_delay_alu instid0(VALU_DEP_3) | instskip(SKIP_1) | instid1(VALU_DEP_3)
	v_mul_f32_e32 v17, 0xbe903f40, v2
	v_dual_add_f32 v19, v58, v59 :: v_dual_sub_f32 v22, v32, v33
	v_dual_sub_f32 v26, v6, v7 :: v_dual_mul_f32 v27, 0xbf4178ce, v18
	s_delay_alu instid0(VALU_DEP_3) | instskip(SKIP_1) | instid1(VALU_DEP_2)
	v_fma_f32 v24, 0xbf75a155, v3, -v17
	v_dual_sub_f32 v5, v38, v37 :: v_dual_mul_f32 v126, 0x3e903f40, v18
	v_dual_mul_f32 v55, 0xbf4178ce, v26 :: v_dual_add_f32 v24, v119, v24
	s_delay_alu instid0(VALU_DEP_2) | instskip(NEXT) | instid1(VALU_DEP_2)
	v_dual_add_f32 v16, v62, v60 :: v_dual_mul_f32 v23, 0x3f0a6770, v5
	v_fma_f32 v69, 0xbf27a4f4, v25, -v55
	v_fmac_f32_e32 v55, 0xbf27a4f4, v25
	s_delay_alu instid0(VALU_DEP_3) | instskip(NEXT) | instid1(VALU_DEP_4)
	v_fma_f32 v52, 0xbf27a4f4, v16, -v27
	v_fma_f32 v48, 0x3f575c64, v4, -v23
	v_mul_f32_e32 v49, 0x3f68dda4, v22
	v_fmac_f32_e32 v27, 0xbf27a4f4, v16
	s_delay_alu instid0(VALU_DEP_3) | instskip(NEXT) | instid1(VALU_DEP_3)
	v_dual_add_f32 v24, v48, v24 :: v_dual_mul_f32 v51, 0xbf4178ce, v2
	v_fma_f32 v53, 0x3ed4b147, v19, -v49
	s_delay_alu instid0(VALU_DEP_2) | instskip(NEXT) | instid1(VALU_DEP_3)
	v_dual_add_f32 v24, v52, v24 :: v_dual_fmac_f32 v17, 0xbf75a155, v3
	v_fma_f32 v54, 0xbf27a4f4, v3, -v51
	v_fmac_f32_e32 v23, 0x3f575c64, v4
	s_delay_alu instid0(VALU_DEP_3) | instskip(NEXT) | instid1(VALU_DEP_4)
	v_dual_fmac_f32 v51, 0xbf27a4f4, v3 :: v_dual_add_f32 v24, v53, v24
	v_dual_mul_f32 v50, 0xbf7d64f0, v26 :: v_dual_add_f32 v17, v119, v17
	s_delay_alu instid0(VALU_DEP_4) | instskip(SKIP_1) | instid1(VALU_DEP_3)
	v_add_f32_e32 v54, v119, v54
	v_mul_f32_e32 v48, 0x3f7d64f0, v5
	v_fma_f32 v52, 0xbe11bafb, v25, -v50
	s_delay_alu instid0(VALU_DEP_4) | instskip(SKIP_1) | instid1(VALU_DEP_4)
	v_add_f32_e32 v17, v23, v17
	v_mul_f32_e32 v23, 0xbf0a6770, v18
	v_fma_f32 v53, 0xbe11bafb, v4, -v48
	v_fmac_f32_e32 v50, 0xbe11bafb, v25
	s_delay_alu instid0(VALU_DEP_4) | instskip(NEXT) | instid1(VALU_DEP_4)
	v_dual_add_f32 v24, v52, v24 :: v_dual_add_f32 v17, v27, v17
	v_fma_f32 v52, 0x3f575c64, v16, -v23
	s_delay_alu instid0(VALU_DEP_4) | instskip(SKIP_1) | instid1(VALU_DEP_2)
	v_dual_add_f32 v27, v53, v54 :: v_dual_fmac_f32 v48, 0xbe11bafb, v4
	v_mul_f32_e32 v53, 0xbe903f40, v22
	v_dual_add_f32 v27, v52, v27 :: v_dual_mul_f32 v52, 0x3f68dda4, v26
	v_fmac_f32_e32 v49, 0x3ed4b147, v19
	s_delay_alu instid0(VALU_DEP_1) | instskip(SKIP_2) | instid1(VALU_DEP_3)
	v_add_f32_e32 v17, v49, v17
	v_add_f32_e32 v49, v119, v51
	v_fma_f32 v51, 0xbf75a155, v19, -v53
	v_add_f32_e32 v17, v50, v17
	s_delay_alu instid0(VALU_DEP_2) | instskip(SKIP_2) | instid1(VALU_DEP_2)
	v_dual_add_f32 v48, v48, v49 :: v_dual_add_f32 v27, v51, v27
	v_fma_f32 v49, 0x3ed4b147, v25, -v52
	v_mul_f32_e32 v50, 0xbf7d64f0, v2
	v_dual_fmac_f32 v52, 0x3ed4b147, v25 :: v_dual_add_f32 v27, v49, v27
	s_delay_alu instid0(VALU_DEP_2) | instskip(SKIP_1) | instid1(VALU_DEP_1)
	v_fma_f32 v49, 0xbe11bafb, v3, -v50
	v_fmac_f32_e32 v50, 0xbe11bafb, v3
	v_dual_add_f32 v50, v119, v50 :: v_dual_fmac_f32 v23, 0x3f575c64, v16
	s_delay_alu instid0(VALU_DEP_1) | instskip(SKIP_1) | instid1(VALU_DEP_2)
	v_dual_add_f32 v23, v23, v48 :: v_dual_mul_f32 v48, 0x3e903f40, v5
	v_fmac_f32_e32 v53, 0xbf75a155, v19
	v_fma_f32 v51, 0xbf75a155, v4, -v48
	s_delay_alu instid0(VALU_DEP_2) | instskip(SKIP_2) | instid1(VALU_DEP_3)
	v_dual_fmac_f32 v48, 0xbf75a155, v4 :: v_dual_add_f32 v23, v53, v23
	v_mul_f32_e32 v53, 0x3f68dda4, v18
	v_mul_f32_e32 v18, 0xbf7d64f0, v18
	v_add_f32_e32 v48, v48, v50
	s_delay_alu instid0(VALU_DEP_4) | instskip(NEXT) | instid1(VALU_DEP_4)
	v_dual_add_f32 v23, v52, v23 :: v_dual_mul_f32 v52, 0xbf0a6770, v22
	v_fma_f32 v54, 0x3ed4b147, v16, -v53
	v_fmac_f32_e32 v53, 0x3ed4b147, v16
	v_add_f32_e32 v49, v119, v49
	s_delay_alu instid0(VALU_DEP_4) | instskip(SKIP_1) | instid1(VALU_DEP_3)
	v_fma_f32 v50, 0x3f575c64, v19, -v52
	v_fmac_f32_e32 v52, 0x3f575c64, v19
	v_dual_add_f32 v48, v53, v48 :: v_dual_add_f32 v49, v51, v49
	s_delay_alu instid0(VALU_DEP_1) | instskip(SKIP_1) | instid1(VALU_DEP_2)
	v_dual_add_f32 v48, v52, v48 :: v_dual_add_f32 v49, v54, v49
	v_mul_f32_e32 v54, 0xbf4178ce, v5
	v_dual_mul_f32 v5, 0xbf68dda4, v5 :: v_dual_add_f32 v48, v55, v48
	v_add_f32_e32 v55, v119, v64
	v_mul_f32_e32 v51, 0xbf68dda4, v2
	v_mul_f32_e32 v2, 0xbf0a6770, v2
	s_delay_alu instid0(VALU_DEP_2) | instskip(NEXT) | instid1(VALU_DEP_1)
	v_fma_f32 v53, 0x3ed4b147, v3, -v51
	v_dual_fmac_f32 v51, 0x3ed4b147, v3 :: v_dual_add_f32 v52, v119, v53
	v_fma_f32 v53, 0xbf27a4f4, v4, -v54
	s_delay_alu instid0(VALU_DEP_2) | instskip(NEXT) | instid1(VALU_DEP_2)
	v_dual_add_f32 v51, v119, v51 :: v_dual_fmac_f32 v54, 0xbf27a4f4, v4
	v_dual_add_f32 v49, v50, v49 :: v_dual_add_f32 v50, v53, v52
	v_fma_f32 v52, 0xbf75a155, v16, -v126
	s_delay_alu instid0(VALU_DEP_3)
	v_dual_fmac_f32 v126, 0xbf75a155, v16 :: v_dual_add_f32 v51, v54, v51
	v_add_f32_e32 v54, v55, v63
	v_fma_f32 v55, 0x3f575c64, v3, -v2
	v_fmac_f32_e32 v2, 0x3f575c64, v3
	v_mul_f32_e32 v53, 0x3f7d64f0, v22
	v_add_f32_e32 v51, v126, v51
	v_add_f32_e32 v54, v54, v62
	v_mul_f32_e32 v22, 0xbf4178ce, v22
	v_add_f32_e32 v2, v119, v2
	v_add_f32_e32 v50, v52, v50
	s_delay_alu instid0(VALU_DEP_4)
	v_add_f32_e32 v3, v54, v58
	v_fma_f32 v54, 0x3ed4b147, v4, -v5
	v_dual_fmac_f32 v5, 0x3ed4b147, v4 :: v_dual_add_f32 v4, v119, v55
	v_fma_f32 v55, 0xbe11bafb, v16, -v18
	v_fmac_f32_e32 v18, 0xbe11bafb, v16
	v_add_f32_e32 v3, v3, v56
	v_fma_f32 v52, 0xbe11bafb, v19, -v53
	v_dual_fmac_f32 v53, 0xbe11bafb, v19 :: v_dual_add_f32 v2, v5, v2
	s_delay_alu instid0(VALU_DEP_3) | instskip(SKIP_2) | instid1(VALU_DEP_4)
	v_dual_mul_f32 v16, 0xbe903f40, v26 :: v_dual_add_f32 v3, v3, v57
	v_dual_mul_f32 v127, 0x3f0a6770, v26 :: v_dual_add_f32 v4, v54, v4
	v_fma_f32 v5, 0xbf27a4f4, v19, -v22
	v_add_f32_e32 v2, v18, v2
	v_add_f32_e32 v18, v53, v51
	;; [unrolled: 1-line block ×3, first 2 shown]
	v_fmac_f32_e32 v22, 0xbf27a4f4, v19
	v_fma_f32 v19, 0xbf75a155, v25, -v16
	v_fmac_f32_e32 v16, 0xbf75a155, v25
	s_delay_alu instid0(VALU_DEP_4) | instskip(SKIP_2) | instid1(VALU_DEP_3)
	v_dual_add_f32 v50, v52, v50 :: v_dual_add_f32 v3, v3, v60
	v_fma_f32 v52, 0x3f575c64, v25, -v127
	v_dual_add_f32 v4, v55, v4 :: v_dual_fmac_f32 v127, 0x3f575c64, v25
	v_dual_add_f32 v2, v22, v2 :: v_dual_add_f32 v3, v3, v45
	v_mul_u32_u24_e32 v22, 0x134, v47
	s_delay_alu instid0(VALU_DEP_3) | instskip(NEXT) | instid1(VALU_DEP_3)
	v_add_f32_e32 v4, v5, v4
	v_dual_add_f32 v2, v16, v2 :: v_dual_add_f32 v3, v3, v61
	s_delay_alu instid0(VALU_DEP_3)
	v_add3_u32 v5, 0, v22, v46
	v_add_f32_e32 v16, v127, v18
	v_add_f32_e32 v18, v69, v49
	;; [unrolled: 1-line block ×4, first 2 shown]
	ds_store_2addr_b32 v5, v3, v2 offset1:7
	ds_store_2addr_b32 v5, v16, v48 offset0:14 offset1:21
	ds_store_2addr_b32 v5, v23, v17 offset0:28 offset1:35
	;; [unrolled: 1-line block ×4, first 2 shown]
	ds_store_b32 v5, v4 offset:280
.LBB0_19:
	s_wait_alu 0xfffe
	s_or_b32 exec_lo, exec_lo, s1
	v_dual_add_f32 v2, v0, v1 :: v_dual_add_f32 v1, v1, v111
	v_sub_f32_e32 v3, v132, v124
	v_dual_add_f32 v4, v13, v112 :: v_dual_sub_f32 v5, v130, v113
	s_delay_alu instid0(VALU_DEP_3) | instskip(NEXT) | instid1(VALU_DEP_4)
	v_add_f32_e32 v2, v2, v13
	v_mul_f32_e32 v13, 0x3f575c64, v1
	s_delay_alu instid0(VALU_DEP_3) | instskip(SKIP_1) | instid1(VALU_DEP_4)
	v_dual_mul_f32 v16, 0x3ed4b147, v1 :: v_dual_mul_f32 v19, 0x3ed4b147, v4
	v_mul_f32_e32 v18, 0xbf27a4f4, v1
	v_add_f32_e32 v2, v2, v44
	v_mul_f32_e32 v23, 0xbf75a155, v4
	s_delay_alu instid0(VALU_DEP_4)
	v_fmamk_f32 v25, v3, 0x3f68dda4, v16
	v_fmamk_f32 v24, v3, 0x3f0a6770, v13
	v_fmac_f32_e32 v16, 0xbf68dda4, v3
	v_add_f32_e32 v2, v2, v21
	v_mul_f32_e32 v17, 0xbe11bafb, v1
	v_add_f32_e32 v25, v0, v25
	v_add_f32_e32 v24, v0, v24
	v_add_nc_u32_e32 v54, 0x1600, v98
	v_dual_add_f32 v2, v2, v68 :: v_dual_mul_f32 v1, 0xbf75a155, v1
	v_fmamk_f32 v26, v3, 0x3f7d64f0, v17
	v_fmac_f32_e32 v17, 0xbf7d64f0, v3
	s_delay_alu instid0(VALU_DEP_3)
	v_dual_add_f32 v2, v2, v28 :: v_dual_add_nc_u32 v69, 0x800, v98
	v_fmac_f32_e32 v13, 0xbf0a6770, v3
	global_wb scope:SCOPE_SE
	s_wait_dscnt 0x0
	s_barrier_signal -1
	s_barrier_wait -1
	v_add_f32_e32 v2, v2, v110
	v_dual_mul_f32 v22, 0xbf27a4f4, v4 :: v_dual_add_f32 v13, v0, v13
	v_fmamk_f32 v27, v3, 0x3f4178ce, v18
	global_inv scope:SCOPE_SE
	v_dual_add_f32 v2, v2, v123 :: v_dual_fmamk_f32 v49, v5, 0x3f4178ce, v22
	v_add_f32_e32 v27, v0, v27
	v_fmac_f32_e32 v18, 0xbf4178ce, v3
	s_delay_alu instid0(VALU_DEP_3) | instskip(SKIP_2) | instid1(VALU_DEP_4)
	v_add_f32_e32 v2, v2, v112
	v_fmamk_f32 v48, v3, 0x3e903f40, v1
	v_fmac_f32_e32 v1, 0xbe903f40, v3
	v_dual_fmamk_f32 v3, v5, 0x3f68dda4, v19 :: v_dual_add_f32 v18, v0, v18
	v_dual_fmac_f32 v19, 0xbf68dda4, v5 :: v_dual_add_f32 v16, v0, v16
	v_add_f32_e32 v17, v0, v17
	v_dual_add_f32 v26, v0, v26 :: v_dual_add_f32 v111, v2, v111
	v_add_f32_e32 v48, v0, v48
	v_dual_add_f32 v0, v0, v1 :: v_dual_add_f32 v1, v3, v24
	v_fmamk_f32 v3, v5, 0xbe903f40, v23
	v_fmac_f32_e32 v22, 0xbf4178ce, v5
	v_add_f32_e32 v2, v19, v13
	v_fmac_f32_e32 v23, 0x3e903f40, v5
	v_mul_f32_e32 v19, 0xbe11bafb, v4
	v_add_f32_e32 v3, v3, v26
	v_dual_add_f32 v13, v49, v25 :: v_dual_add_f32 v16, v22, v16
	v_add_f32_e32 v22, v44, v123
	v_dual_mul_f32 v4, 0x3f575c64, v4 :: v_dual_add_f32 v17, v23, v17
	v_fmamk_f32 v23, v5, 0xbf7d64f0, v19
	s_delay_alu instid0(VALU_DEP_3) | instskip(NEXT) | instid1(VALU_DEP_3)
	v_dual_sub_f32 v25, v122, v108 :: v_dual_mul_f32 v26, 0xbe11bafb, v22
	v_fmamk_f32 v24, v5, 0xbf0a6770, v4
	v_fmac_f32_e32 v19, 0x3f7d64f0, v5
	s_delay_alu instid0(VALU_DEP_4) | instskip(SKIP_1) | instid1(VALU_DEP_3)
	v_dual_fmac_f32 v4, 0x3f0a6770, v5 :: v_dual_add_f32 v23, v23, v27
	v_add_nc_u32_e32 v49, 0xa00, v98
	v_dual_add_f32 v5, v19, v18 :: v_dual_add_f32 v18, v24, v48
	s_delay_alu instid0(VALU_DEP_3) | instskip(SKIP_2) | instid1(VALU_DEP_3)
	v_dual_fmamk_f32 v19, v25, 0x3f7d64f0, v26 :: v_dual_add_f32 v0, v4, v0
	v_mul_f32_e32 v24, 0xbf75a155, v22
	v_fmac_f32_e32 v26, 0xbf7d64f0, v25
	v_dual_add_f32 v1, v19, v1 :: v_dual_add_nc_u32 v48, 0x400, v98
	s_delay_alu instid0(VALU_DEP_2) | instskip(NEXT) | instid1(VALU_DEP_1)
	v_dual_fmamk_f32 v19, v25, 0xbe903f40, v24 :: v_dual_add_f32 v2, v26, v2
	v_dual_mul_f32 v4, 0x3ed4b147, v22 :: v_dual_add_f32 v13, v19, v13
	s_delay_alu instid0(VALU_DEP_1) | instskip(SKIP_1) | instid1(VALU_DEP_1)
	v_fmamk_f32 v26, v25, 0xbf68dda4, v4
	v_fmac_f32_e32 v4, 0x3f68dda4, v25
	v_dual_mul_f32 v19, 0x3f575c64, v22 :: v_dual_add_f32 v4, v4, v17
	v_add_f32_e32 v17, v21, v110
	v_mul_f32_e32 v21, 0xbf27a4f4, v22
	s_delay_alu instid0(VALU_DEP_3) | instskip(SKIP_1) | instid1(VALU_DEP_1)
	v_fmamk_f32 v22, v25, 0x3f0a6770, v19
	v_fmac_f32_e32 v19, 0xbf0a6770, v25
	v_add_f32_e32 v5, v19, v5
	v_dual_fmac_f32 v24, 0x3e903f40, v25 :: v_dual_add_f32 v3, v26, v3
	v_mul_f32_e32 v26, 0xbf27a4f4, v17
	s_delay_alu instid0(VALU_DEP_2) | instskip(SKIP_3) | instid1(VALU_DEP_2)
	v_add_f32_e32 v16, v24, v16
	v_sub_f32_e32 v24, v109, v107
	v_fmamk_f32 v27, v25, 0x3f4178ce, v21
	v_fmac_f32_e32 v21, 0xbf4178ce, v25
	v_dual_mul_f32 v25, 0xbf75a155, v17 :: v_dual_add_f32 v18, v27, v18
	s_delay_alu instid0(VALU_DEP_2) | instskip(NEXT) | instid1(VALU_DEP_1)
	v_dual_fmamk_f32 v19, v24, 0x3f4178ce, v26 :: v_dual_add_f32 v0, v21, v0
	v_dual_add_f32 v1, v19, v1 :: v_dual_add_f32 v22, v22, v23
	v_mul_f32_e32 v23, 0xbe11bafb, v17
	s_delay_alu instid0(VALU_DEP_1) | instskip(NEXT) | instid1(VALU_DEP_1)
	v_fmamk_f32 v21, v24, 0xbf7d64f0, v23
	v_dual_fmac_f32 v26, 0xbf4178ce, v24 :: v_dual_add_f32 v13, v21, v13
	s_delay_alu instid0(VALU_DEP_1) | instskip(SKIP_2) | instid1(VALU_DEP_3)
	v_dual_add_f32 v2, v26, v2 :: v_dual_fmac_f32 v23, 0x3f7d64f0, v24
	v_mul_f32_e32 v19, 0x3f575c64, v17
	v_mul_f32_e32 v17, 0x3ed4b147, v17
	v_dual_fmamk_f32 v21, v24, 0x3e903f40, v25 :: v_dual_add_f32 v16, v23, v16
	s_delay_alu instid0(VALU_DEP_3) | instskip(NEXT) | instid1(VALU_DEP_3)
	v_fmamk_f32 v26, v24, 0x3f0a6770, v19
	v_fmamk_f32 v23, v24, 0xbf68dda4, v17
	s_delay_alu instid0(VALU_DEP_1) | instskip(NEXT) | instid1(VALU_DEP_1)
	v_dual_fmac_f32 v19, 0xbf0a6770, v24 :: v_dual_add_f32 v18, v23, v18
	v_dual_add_f32 v4, v19, v4 :: v_dual_add_f32 v19, v21, v22
	v_add_f32_e32 v22, v76, v12
	s_delay_alu instid0(VALU_DEP_1) | instskip(NEXT) | instid1(VALU_DEP_1)
	v_dual_fmac_f32 v25, 0xbe903f40, v24 :: v_dual_add_f32 v22, v22, v10
	v_add_f32_e32 v5, v25, v5
	v_sub_f32_e32 v25, v104, v105
	v_add_f32_e32 v21, v68, v28
	v_add_f32_e32 v3, v26, v3
	;; [unrolled: 1-line block ×3, first 2 shown]
	v_dual_fmac_f32 v17, 0x3f68dda4, v24 :: v_dual_add_f32 v10, v10, v101
	s_delay_alu instid0(VALU_DEP_4) | instskip(SKIP_1) | instid1(VALU_DEP_3)
	v_mul_f32_e32 v26, 0xbf75a155, v21
	v_add_nc_u32_e32 v68, 0x1800, v98
	v_add_f32_e32 v0, v17, v0
	s_delay_alu instid0(VALU_DEP_3) | instskip(NEXT) | instid1(VALU_DEP_1)
	v_fmamk_f32 v24, v25, 0x3e903f40, v26
	v_dual_add_f32 v104, v24, v1 :: v_dual_add_f32 v1, v22, v11
	v_fmac_f32_e32 v26, 0xbe903f40, v25
	v_mul_f32_e32 v23, 0x3f575c64, v21
	s_delay_alu instid0(VALU_DEP_3) | instskip(NEXT) | instid1(VALU_DEP_2)
	v_add_f32_e32 v1, v1, v30
	v_dual_add_f32 v44, v26, v2 :: v_dual_fmamk_f32 v17, v25, 0xbf0a6770, v23
	v_mul_f32_e32 v2, 0xbf27a4f4, v21
	s_delay_alu instid0(VALU_DEP_2) | instskip(NEXT) | instid1(VALU_DEP_2)
	v_add_f32_e32 v105, v17, v13
	v_fmamk_f32 v17, v25, 0x3f4178ce, v2
	s_delay_alu instid0(VALU_DEP_1) | instskip(NEXT) | instid1(VALU_DEP_1)
	v_dual_fmac_f32 v2, 0xbf4178ce, v25 :: v_dual_add_f32 v109, v17, v3
	v_add_f32_e32 v108, v2, v4
	v_dual_mul_f32 v2, 0xbe11bafb, v21 :: v_dual_add_f32 v3, v12, v103
	v_sub_f32_e32 v12, v106, v102
	s_delay_alu instid0(VALU_DEP_2) | instskip(SKIP_2) | instid1(VALU_DEP_3)
	v_fmamk_f32 v4, v25, 0x3f7d64f0, v2
	v_fmac_f32_e32 v23, 0x3f0a6770, v25
	v_fmac_f32_e32 v2, 0xbf7d64f0, v25
	v_dual_mul_f32 v13, 0x3ed4b147, v21 :: v_dual_add_f32 v106, v4, v18
	s_delay_alu instid0(VALU_DEP_3) | instskip(NEXT) | instid1(VALU_DEP_3)
	v_add_f32_e32 v107, v23, v16
	v_add_f32_e32 v112, v2, v0
	s_delay_alu instid0(VALU_DEP_3) | instskip(SKIP_3) | instid1(VALU_DEP_4)
	v_fmamk_f32 v16, v25, 0xbf68dda4, v13
	v_mul_f32_e32 v0, 0x3ed4b147, v3
	v_fmac_f32_e32 v13, 0x3f68dda4, v25
	v_mul_f32_e32 v2, 0xbe11bafb, v3
	v_add_f32_e32 v110, v16, v19
	v_dual_mul_f32 v16, 0x3f575c64, v3 :: v_dual_add_f32 v1, v1, v29
	v_sub_f32_e32 v19, v79, v99
	v_lshl_add_u32 v79, v114, 2, 0
	s_delay_alu instid0(VALU_DEP_3) | instskip(NEXT) | instid1(VALU_DEP_1)
	v_dual_fmamk_f32 v4, v12, 0x3f0a6770, v16 :: v_dual_add_f32 v1, v1, v95
	v_dual_fmac_f32 v16, 0xbf0a6770, v12 :: v_dual_add_f32 v1, v1, v81
	s_delay_alu instid0(VALU_DEP_1) | instskip(NEXT) | instid1(VALU_DEP_1)
	v_add_f32_e32 v1, v1, v101
	v_add_f32_e32 v103, v1, v103
	s_delay_alu instid0(VALU_DEP_4) | instskip(SKIP_4) | instid1(VALU_DEP_4)
	v_add_f32_e32 v1, v76, v4
	v_fmamk_f32 v4, v12, 0x3f68dda4, v0
	v_dual_add_f32 v102, v13, v5 :: v_dual_add_f32 v5, v76, v16
	v_mul_f32_e32 v13, 0xbf27a4f4, v3
	v_fmamk_f32 v16, v12, 0x3f7d64f0, v2
	v_dual_mul_f32 v3, 0xbf75a155, v3 :: v_dual_add_f32 v4, v76, v4
	v_mul_f32_e32 v23, 0xbf75a155, v10
	s_delay_alu instid0(VALU_DEP_4) | instskip(SKIP_2) | instid1(VALU_DEP_3)
	v_fmamk_f32 v17, v12, 0x3f4178ce, v13
	v_fmac_f32_e32 v0, 0xbf68dda4, v12
	v_add_f32_e32 v16, v76, v16
	v_add_f32_e32 v17, v76, v17
	s_delay_alu instid0(VALU_DEP_3) | instskip(SKIP_2) | instid1(VALU_DEP_1)
	v_add_f32_e32 v0, v76, v0
	v_fmac_f32_e32 v13, 0xbf4178ce, v12
	v_mul_f32_e32 v21, 0x3ed4b147, v10
	v_fmamk_f32 v22, v19, 0x3f68dda4, v21
	v_fmamk_f32 v18, v12, 0x3e903f40, v3
	v_fmac_f32_e32 v3, 0xbe903f40, v12
	s_delay_alu instid0(VALU_DEP_3) | instskip(SKIP_1) | instid1(VALU_DEP_4)
	v_dual_add_f32 v1, v22, v1 :: v_dual_fmac_f32 v2, 0xbf7d64f0, v12
	v_add_f32_e32 v12, v76, v13
	v_add_f32_e32 v13, v76, v18
	s_delay_alu instid0(VALU_DEP_3) | instskip(NEXT) | instid1(VALU_DEP_1)
	v_dual_fmac_f32 v21, 0xbf68dda4, v19 :: v_dual_add_f32 v2, v76, v2
	v_add_f32_e32 v5, v21, v5
	v_fmamk_f32 v21, v19, 0xbe903f40, v23
	v_fmac_f32_e32 v23, 0x3e903f40, v19
	s_delay_alu instid0(VALU_DEP_1) | instskip(SKIP_2) | instid1(VALU_DEP_2)
	v_add_f32_e32 v2, v23, v2
	v_dual_mul_f32 v18, 0xbf27a4f4, v10 :: v_dual_add_f32 v3, v76, v3
	v_dual_sub_f32 v23, v100, v97 :: v_dual_add_nc_u32 v76, 0x400, v79
	v_fmamk_f32 v24, v19, 0x3f4178ce, v18
	v_fmac_f32_e32 v18, 0xbf4178ce, v19
	s_delay_alu instid0(VALU_DEP_2) | instskip(NEXT) | instid1(VALU_DEP_2)
	v_add_f32_e32 v4, v24, v4
	v_add_f32_e32 v0, v18, v0
	v_mul_f32_e32 v18, 0xbe11bafb, v10
	v_add_f32_e32 v16, v21, v16
	v_mul_f32_e32 v10, 0x3f575c64, v10
	s_delay_alu instid0(VALU_DEP_3) | instskip(NEXT) | instid1(VALU_DEP_2)
	v_dual_add_f32 v20, v20, v81 :: v_dual_fmamk_f32 v21, v19, 0xbf7d64f0, v18
	v_fmamk_f32 v22, v19, 0xbf0a6770, v10
	s_delay_alu instid0(VALU_DEP_2) | instskip(NEXT) | instid1(VALU_DEP_2)
	v_dual_mul_f32 v24, 0xbe11bafb, v20 :: v_dual_add_f32 v17, v21, v17
	v_dual_fmac_f32 v18, 0x3f7d64f0, v19 :: v_dual_add_f32 v13, v22, v13
	v_fmac_f32_e32 v10, 0x3f0a6770, v19
	v_mul_f32_e32 v19, 0xbf75a155, v20
	s_delay_alu instid0(VALU_DEP_3) | instskip(SKIP_1) | instid1(VALU_DEP_1)
	v_add_f32_e32 v12, v18, v12
	v_fmamk_f32 v18, v23, 0x3f7d64f0, v24
	v_dual_add_f32 v1, v18, v1 :: v_dual_fmamk_f32 v18, v23, 0xbe903f40, v19
	s_delay_alu instid0(VALU_DEP_1) | instskip(SKIP_1) | instid1(VALU_DEP_2)
	v_dual_fmac_f32 v19, 0x3e903f40, v23 :: v_dual_add_f32 v4, v18, v4
	v_mul_f32_e32 v18, 0x3f575c64, v20
	v_add_f32_e32 v0, v19, v0
	s_delay_alu instid0(VALU_DEP_2) | instskip(NEXT) | instid1(VALU_DEP_1)
	v_fmamk_f32 v19, v23, 0x3f0a6770, v18
	v_add_f32_e32 v17, v19, v17
	v_dual_add_f32 v3, v10, v3 :: v_dual_mul_f32 v10, 0x3ed4b147, v20
	s_delay_alu instid0(VALU_DEP_1) | instskip(SKIP_1) | instid1(VALU_DEP_1)
	v_fmamk_f32 v21, v23, 0xbf68dda4, v10
	v_fmac_f32_e32 v10, 0x3f68dda4, v23
	v_add_f32_e32 v2, v10, v2
	v_dual_add_f32 v10, v11, v95 :: v_dual_mul_f32 v11, 0xbf27a4f4, v20
	v_sub_f32_e32 v20, v82, v96
	s_delay_alu instid0(VALU_DEP_2) | instskip(NEXT) | instid1(VALU_DEP_3)
	v_dual_add_f32 v16, v21, v16 :: v_dual_mul_f32 v21, 0xbf27a4f4, v10
	v_fmamk_f32 v22, v23, 0x3f4178ce, v11
	v_fmac_f32_e32 v11, 0xbf4178ce, v23
	v_mul_f32_e32 v19, 0xbe11bafb, v10
	s_delay_alu instid0(VALU_DEP_3) | instskip(NEXT) | instid1(VALU_DEP_3)
	v_add_f32_e32 v13, v22, v13
	v_add_f32_e32 v3, v11, v3
	v_mul_f32_e32 v11, 0x3f575c64, v10
	v_fmac_f32_e32 v18, 0xbf0a6770, v23
	s_delay_alu instid0(VALU_DEP_2) | instskip(SKIP_1) | instid1(VALU_DEP_3)
	v_fmamk_f32 v22, v20, 0x3f0a6770, v11
	v_fmac_f32_e32 v11, 0xbf0a6770, v20
	v_add_f32_e32 v12, v18, v12
	v_fmamk_f32 v18, v20, 0x3f4178ce, v21
	v_fmac_f32_e32 v24, 0xbf7d64f0, v23
	s_delay_alu instid0(VALU_DEP_4) | instskip(NEXT) | instid1(VALU_DEP_3)
	v_dual_fmac_f32 v21, 0xbf4178ce, v20 :: v_dual_add_f32 v2, v11, v2
	v_add_f32_e32 v1, v18, v1
	s_delay_alu instid0(VALU_DEP_3) | instskip(SKIP_2) | instid1(VALU_DEP_3)
	v_add_f32_e32 v5, v24, v5
	v_fmamk_f32 v18, v20, 0xbf7d64f0, v19
	v_fmac_f32_e32 v19, 0x3f7d64f0, v20
	v_add_f32_e32 v5, v21, v5
	v_mul_f32_e32 v21, 0xbf75a155, v10
	v_mul_f32_e32 v10, 0x3ed4b147, v10
	s_delay_alu instid0(VALU_DEP_1) | instskip(NEXT) | instid1(VALU_DEP_1)
	v_dual_add_f32 v0, v19, v0 :: v_dual_fmamk_f32 v19, v20, 0xbf68dda4, v10
	v_dual_add_f32 v13, v19, v13 :: v_dual_add_f32 v4, v18, v4
	s_delay_alu instid0(VALU_DEP_4) | instskip(NEXT) | instid1(VALU_DEP_1)
	v_fmamk_f32 v18, v20, 0x3e903f40, v21
	v_add_f32_e32 v11, v18, v17
	v_add_f32_e32 v18, v75, v9
	v_dual_add_f32 v17, v30, v29 :: v_dual_fmac_f32 v10, 0x3f68dda4, v20
	s_delay_alu instid0(VALU_DEP_2) | instskip(SKIP_1) | instid1(VALU_DEP_3)
	v_add_f32_e32 v18, v18, v8
	v_fmac_f32_e32 v21, 0xbe903f40, v20
	v_add_f32_e32 v3, v10, v3
	s_delay_alu instid0(VALU_DEP_4) | instskip(SKIP_3) | instid1(VALU_DEP_1)
	v_dual_add_f32 v16, v22, v16 :: v_dual_mul_f32 v19, 0x3f575c64, v17
	v_mul_f32_e32 v22, 0xbf75a155, v17
	v_add_f32_e32 v18, v18, v15
	v_dual_add_f32 v12, v21, v12 :: v_dual_sub_f32 v21, v87, v94
	v_dual_add_f32 v15, v15, v86 :: v_dual_fmamk_f32 v20, v21, 0x3e903f40, v22
	s_delay_alu instid0(VALU_DEP_1) | instskip(NEXT) | instid1(VALU_DEP_4)
	v_dual_fmamk_f32 v10, v21, 0xbf0a6770, v19 :: v_dual_add_f32 v81, v20, v1
	v_add_f32_e32 v1, v18, v14
	s_delay_alu instid0(VALU_DEP_2) | instskip(NEXT) | instid1(VALU_DEP_2)
	v_dual_add_f32 v87, v10, v4 :: v_dual_mul_f32 v4, 0x3ed4b147, v17
	v_add_f32_e32 v1, v1, v31
	v_fmac_f32_e32 v19, 0x3f0a6770, v21
	v_fmac_f32_e32 v22, 0xbe903f40, v21
	s_delay_alu instid0(VALU_DEP_2) | instskip(NEXT) | instid1(VALU_DEP_4)
	v_add_f32_e32 v94, v19, v0
	v_add_f32_e32 v0, v1, v70
	v_fmamk_f32 v1, v21, 0xbf68dda4, v4
	s_delay_alu instid0(VALU_DEP_1)
	v_dual_fmac_f32 v4, 0x3f68dda4, v21 :: v_dual_add_f32 v97, v1, v11
	v_dual_add_f32 v1, v9, v92 :: v_dual_add_f32 v82, v22, v5
	v_mul_f32_e32 v5, 0xbf27a4f4, v17
	v_sub_f32_e32 v9, v78, v93
	v_add_f32_e32 v0, v0, v77
	v_add_f32_e32 v8, v8, v91
	v_lshl_add_u32 v78, v118, 2, 0
	v_fmamk_f32 v10, v21, 0x3f4178ce, v5
	s_delay_alu instid0(VALU_DEP_4) | instskip(NEXT) | instid1(VALU_DEP_1)
	v_dual_fmac_f32 v5, 0xbf4178ce, v21 :: v_dual_add_f32 v0, v0, v86
	v_add_f32_e32 v96, v5, v2
	v_mul_f32_e32 v2, 0xbe11bafb, v17
	s_delay_alu instid0(VALU_DEP_1) | instskip(SKIP_1) | instid1(VALU_DEP_2)
	v_dual_add_f32 v0, v0, v91 :: v_dual_fmamk_f32 v5, v21, 0x3f7d64f0, v2
	v_fmac_f32_e32 v2, 0xbf7d64f0, v21
	v_dual_add_f32 v92, v0, v92 :: v_dual_add_f32 v99, v5, v13
	s_delay_alu instid0(VALU_DEP_2) | instskip(SKIP_1) | instid1(VALU_DEP_2)
	v_dual_add_f32 v100, v2, v3 :: v_dual_mul_f32 v3, 0xbe11bafb, v1
	v_mul_f32_e32 v2, 0x3ed4b147, v1
	v_fmamk_f32 v11, v9, 0x3f7d64f0, v3
	v_fmac_f32_e32 v3, 0xbf7d64f0, v9
	s_delay_alu instid0(VALU_DEP_2) | instskip(NEXT) | instid1(VALU_DEP_2)
	v_add_f32_e32 v11, v75, v11
	v_add_f32_e32 v3, v75, v3
	;; [unrolled: 1-line block ×3, first 2 shown]
	v_dual_add_f32 v95, v10, v16 :: v_dual_mul_f32 v10, 0x3f575c64, v1
	s_delay_alu instid0(VALU_DEP_1) | instskip(SKIP_1) | instid1(VALU_DEP_1)
	v_fmamk_f32 v4, v9, 0x3f0a6770, v10
	v_fmac_f32_e32 v10, 0xbf0a6770, v9
	v_dual_add_f32 v5, v75, v10 :: v_dual_mul_f32 v10, 0xbf27a4f4, v1
	v_dual_mul_f32 v1, 0xbf75a155, v1 :: v_dual_sub_f32 v16, v80, v90
	s_delay_alu instid0(VALU_DEP_2) | instskip(NEXT) | instid1(VALU_DEP_2)
	v_fmamk_f32 v12, v9, 0x3f4178ce, v10
	v_fmamk_f32 v13, v9, 0x3e903f40, v1
	v_mul_f32_e32 v17, 0x3ed4b147, v8
	v_fmac_f32_e32 v1, 0xbe903f40, v9
	v_mul_f32_e32 v19, 0xbf75a155, v8
	s_delay_alu instid0(VALU_DEP_2) | instskip(SKIP_3) | instid1(VALU_DEP_3)
	v_dual_fmamk_f32 v18, v16, 0x3f68dda4, v17 :: v_dual_add_f32 v1, v75, v1
	v_fmac_f32_e32 v17, 0xbf68dda4, v16
	v_add_f32_e32 v0, v75, v4
	v_fmamk_f32 v4, v9, 0x3f68dda4, v2
	v_add_f32_e32 v5, v17, v5
	s_delay_alu instid0(VALU_DEP_2) | instskip(SKIP_1) | instid1(VALU_DEP_2)
	v_dual_fmamk_f32 v17, v16, 0xbe903f40, v19 :: v_dual_add_f32 v4, v75, v4
	v_fmac_f32_e32 v19, 0x3e903f40, v16
	v_dual_add_f32 v11, v17, v11 :: v_dual_fmac_f32 v2, 0xbf68dda4, v9
	s_delay_alu instid0(VALU_DEP_2) | instskip(SKIP_1) | instid1(VALU_DEP_2)
	v_dual_add_f32 v3, v19, v3 :: v_dual_fmac_f32 v10, 0xbf4178ce, v9
	v_sub_f32_e32 v19, v83, v89
	v_add_f32_e32 v9, v75, v10
	v_dual_add_f32 v10, v75, v13 :: v_dual_mul_f32 v13, 0xbf27a4f4, v8
	v_add_f32_e32 v2, v75, v2
	s_delay_alu instid0(VALU_DEP_2) | instskip(SKIP_1) | instid1(VALU_DEP_2)
	v_fmamk_f32 v20, v16, 0x3f4178ce, v13
	v_fmac_f32_e32 v13, 0xbf4178ce, v16
	v_add_f32_e32 v4, v20, v4
	s_delay_alu instid0(VALU_DEP_2) | instskip(SKIP_3) | instid1(VALU_DEP_4)
	v_dual_add_f32 v2, v13, v2 :: v_dual_mul_f32 v13, 0xbe11bafb, v8
	v_add_f32_e32 v12, v75, v12
	v_mul_f32_e32 v20, 0xbe11bafb, v15
	v_add_nc_u32_e32 v75, 0x1000, v98
	v_fmamk_f32 v17, v16, 0xbf7d64f0, v13
	v_fmac_f32_e32 v13, 0x3f7d64f0, v16
	s_delay_alu instid0(VALU_DEP_1) | instskip(SKIP_3) | instid1(VALU_DEP_2)
	v_dual_add_f32 v9, v13, v9 :: v_dual_add_f32 v0, v18, v0
	v_fmamk_f32 v13, v19, 0x3f7d64f0, v20
	v_fmac_f32_e32 v20, 0xbf7d64f0, v19
	v_mul_f32_e32 v8, 0x3f575c64, v8
	v_dual_add_f32 v0, v13, v0 :: v_dual_add_f32 v5, v20, v5
	s_delay_alu instid0(VALU_DEP_2) | instskip(SKIP_1) | instid1(VALU_DEP_1)
	v_fmamk_f32 v18, v16, 0xbf0a6770, v8
	v_fmac_f32_e32 v8, 0x3f0a6770, v16
	v_dual_add_f32 v1, v8, v1 :: v_dual_mul_f32 v8, 0x3ed4b147, v15
	v_add_f32_e32 v12, v17, v12
	v_mul_f32_e32 v16, 0xbf75a155, v15
	s_delay_alu instid0(VALU_DEP_3) | instskip(SKIP_1) | instid1(VALU_DEP_3)
	v_fmamk_f32 v17, v19, 0xbf68dda4, v8
	v_fmac_f32_e32 v8, 0x3f68dda4, v19
	v_fmamk_f32 v13, v19, 0xbe903f40, v16
	s_delay_alu instid0(VALU_DEP_3) | instskip(NEXT) | instid1(VALU_DEP_3)
	v_add_f32_e32 v11, v17, v11
	v_dual_add_f32 v3, v8, v3 :: v_dual_add_f32 v8, v14, v77
	v_mul_f32_e32 v14, 0xbf27a4f4, v15
	v_add_nc_u32_e32 v77, 0x1c00, v98
	s_delay_alu instid0(VALU_DEP_3) | instskip(SKIP_1) | instid1(VALU_DEP_1)
	v_mul_f32_e32 v17, 0xbf27a4f4, v8
	v_dual_add_f32 v4, v13, v4 :: v_dual_mul_f32 v13, 0x3f575c64, v15
	v_fmamk_f32 v15, v19, 0x3f0a6770, v13
	v_dual_fmac_f32 v13, 0xbf0a6770, v19 :: v_dual_add_f32 v10, v18, v10
	v_fmamk_f32 v18, v19, 0x3f4178ce, v14
	v_fmac_f32_e32 v14, 0xbf4178ce, v19
	s_delay_alu instid0(VALU_DEP_3) | instskip(NEXT) | instid1(VALU_DEP_3)
	v_dual_add_f32 v12, v15, v12 :: v_dual_add_f32 v9, v13, v9
	v_dual_mul_f32 v15, 0xbe11bafb, v8 :: v_dual_add_f32 v10, v18, v10
	s_delay_alu instid0(VALU_DEP_3) | instskip(NEXT) | instid1(VALU_DEP_1)
	v_dual_add_f32 v1, v14, v1 :: v_dual_fmac_f32 v16, 0x3e903f40, v19
	v_add_f32_e32 v2, v16, v2
	v_dual_sub_f32 v16, v65, v71 :: v_dual_add_nc_u32 v65, 0xc00, v98
	s_delay_alu instid0(VALU_DEP_1) | instskip(SKIP_2) | instid1(VALU_DEP_3)
	v_fmamk_f32 v13, v16, 0x3f4178ce, v17
	v_fmac_f32_e32 v17, 0xbf4178ce, v16
	v_fmamk_f32 v14, v16, 0xbf7d64f0, v15
	v_add_f32_e32 v0, v13, v0
	v_mul_f32_e32 v13, 0x3f575c64, v8
	s_delay_alu instid0(VALU_DEP_4) | instskip(SKIP_2) | instid1(VALU_DEP_4)
	v_add_f32_e32 v5, v17, v5
	v_mul_f32_e32 v17, 0xbf75a155, v8
	v_add_f32_e32 v4, v14, v4
	v_fmamk_f32 v18, v16, 0x3f0a6770, v13
	v_fmac_f32_e32 v13, 0xbf0a6770, v16
	s_delay_alu instid0(VALU_DEP_2) | instskip(NEXT) | instid1(VALU_DEP_2)
	v_dual_fmamk_f32 v14, v16, 0x3e903f40, v17 :: v_dual_add_f32 v11, v18, v11
	v_dual_mul_f32 v8, 0x3ed4b147, v8 :: v_dual_add_f32 v3, v13, v3
	s_delay_alu instid0(VALU_DEP_2) | instskip(SKIP_1) | instid1(VALU_DEP_3)
	v_dual_add_f32 v13, v31, v70 :: v_dual_add_f32 v12, v14, v12
	v_add_nc_u32_e32 v70, 0x1400, v98
	v_fmamk_f32 v14, v16, 0xbf68dda4, v8
	v_fmac_f32_e32 v15, 0x3f7d64f0, v16
	s_delay_alu instid0(VALU_DEP_4) | instskip(SKIP_1) | instid1(VALU_DEP_4)
	v_mul_f32_e32 v18, 0xbf75a155, v13
	v_fmac_f32_e32 v8, 0x3f68dda4, v16
	v_add_f32_e32 v10, v14, v10
	s_delay_alu instid0(VALU_DEP_4)
	v_dual_add_f32 v2, v15, v2 :: v_dual_sub_f32 v15, v66, v67
	v_fmac_f32_e32 v17, 0xbe903f40, v16
	v_mul_f32_e32 v14, 0x3f575c64, v13
	v_add_f32_e32 v1, v8, v1
	v_mul_f32_e32 v8, 0xbf27a4f4, v13
	v_fmamk_f32 v16, v15, 0x3e903f40, v18
	v_dual_fmac_f32 v18, 0xbe903f40, v15 :: v_dual_add_f32 v9, v17, v9
	v_fmamk_f32 v17, v15, 0xbf0a6770, v14
	s_delay_alu instid0(VALU_DEP_3) | instskip(SKIP_1) | instid1(VALU_DEP_3)
	v_dual_fmac_f32 v14, 0x3f0a6770, v15 :: v_dual_add_f32 v71, v16, v0
	v_fmamk_f32 v0, v15, 0x3f4178ce, v8
	v_dual_fmac_f32 v8, 0xbf4178ce, v15 :: v_dual_add_f32 v83, v17, v4
	v_mul_f32_e32 v4, 0x3ed4b147, v13
	s_delay_alu instid0(VALU_DEP_4) | instskip(SKIP_2) | instid1(VALU_DEP_4)
	v_add_f32_e32 v86, v14, v2
	v_mul_f32_e32 v2, 0xbe11bafb, v13
	v_dual_add_f32 v80, v18, v5 :: v_dual_add_f32 v89, v0, v11
	v_fmamk_f32 v0, v15, 0xbf68dda4, v4
	v_fmac_f32_e32 v4, 0x3f68dda4, v15
	s_delay_alu instid0(VALU_DEP_4)
	v_fmamk_f32 v5, v15, 0x3f7d64f0, v2
	v_fmac_f32_e32 v2, 0xbf7d64f0, v15
	v_add_f32_e32 v90, v8, v3
	v_add_nc_u32_e32 v66, 0x600, v98
	v_add_nc_u32_e32 v67, 0x1200, v98
	v_add_f32_e32 v101, v4, v9
	v_add_f32_e32 v113, v5, v10
	;; [unrolled: 1-line block ×3, first 2 shown]
	ds_load_b32 v51, v98
	ds_load_2addr_b32 v[30:31], v48 offset0:129 offset1:184
	ds_load_2addr_b32 v[2:3], v49 offset0:75 offset1:130
	;; [unrolled: 1-line block ×8, first 2 shown]
	ds_load_b32 v53, v85
	ds_load_b32 v50, v88
	ds_load_2addr_b32 v[16:17], v65 offset0:167 offset1:222
	v_add_f32_e32 v91, v0, v12
	ds_load_2addr_b32 v[18:19], v68 offset0:169 offset1:224
	ds_load_b32 v55, v84
	ds_load_b32 v52, v78
	ds_load_2addr_b32 v[14:15], v69 offset0:93 offset1:148
	ds_load_2addr_b32 v[12:13], v70 offset0:95 offset1:150
	;; [unrolled: 1-line block ×5, first 2 shown]
	global_wb scope:SCOPE_SE
	s_wait_dscnt 0x0
	s_barrier_signal -1
	s_barrier_wait -1
	global_inv scope:SCOPE_SE
	ds_store_2addr_b32 v120, v111, v104 offset1:7
	ds_store_2addr_b32 v120, v105, v109 offset0:14 offset1:21
	ds_store_2addr_b32 v120, v110, v106 offset0:28 offset1:35
	ds_store_2addr_b32 v120, v112, v102 offset0:42 offset1:49
	ds_store_2addr_b32 v120, v108, v107 offset0:56 offset1:63
	ds_store_b32 v120, v44 offset:280
	ds_store_2addr_b32 v121, v103, v81 offset1:7
	ds_store_2addr_b32 v121, v87, v95 offset0:14 offset1:21
	ds_store_2addr_b32 v121, v97, v99 offset0:28 offset1:35
	ds_store_2addr_b32 v121, v100, v93 offset0:42 offset1:49
	ds_store_2addr_b32 v121, v96, v94 offset0:56 offset1:63
	ds_store_b32 v121, v82 offset:280
	;; [unrolled: 6-line block ×3, first 2 shown]
	s_and_saveexec_b32 s1, s0
	s_cbranch_execz .LBB0_21
; %bb.20:
	v_dual_add_f32 v44, v73, v39 :: v_dual_add_f32 v39, v39, v36
	v_sub_f32_e32 v61, v64, v61
	v_add_f32_e32 v64, v38, v37
	s_delay_alu instid0(VALU_DEP_3) | instskip(NEXT) | instid1(VALU_DEP_4)
	v_dual_sub_f32 v45, v63, v45 :: v_dual_add_f32 v38, v44, v38
	v_mul_f32_e32 v71, 0xbe11bafb, v39
	v_mul_f32_e32 v44, 0x3f575c64, v39
	;; [unrolled: 1-line block ×3, first 2 shown]
	v_mul_u32_u24_e32 v47, 0x134, v47
	s_delay_alu instid0(VALU_DEP_4) | instskip(SKIP_2) | instid1(VALU_DEP_4)
	v_dual_add_f32 v38, v38, v34 :: v_dual_fmamk_f32 v89, v61, 0x3f7d64f0, v71
	v_mul_f32_e32 v80, 0xbf27a4f4, v39
	v_mul_f32_e32 v39, 0xbf75a155, v39
	v_add3_u32 v46, 0, v47, v46
	s_delay_alu instid0(VALU_DEP_4) | instskip(SKIP_3) | instid1(VALU_DEP_4)
	v_add_f32_e32 v38, v38, v32
	v_dual_mul_f32 v81, 0x3ed4b147, v64 :: v_dual_add_f32 v34, v34, v35
	v_add_f32_e32 v32, v32, v33
	v_sub_f32_e32 v60, v62, v60
	v_dual_add_f32 v38, v38, v6 :: v_dual_mul_f32 v83, 0xbf75a155, v64
	s_delay_alu instid0(VALU_DEP_4) | instskip(SKIP_2) | instid1(VALU_DEP_4)
	v_mul_f32_e32 v62, 0xbe11bafb, v34
	v_add_f32_e32 v6, v6, v7
	v_sub_f32_e32 v56, v56, v57
	v_dual_add_f32 v38, v38, v7 :: v_dual_fmamk_f32 v87, v61, 0x3f68dda4, v63
	s_delay_alu instid0(VALU_DEP_1) | instskip(NEXT) | instid1(VALU_DEP_2)
	v_add_f32_e32 v38, v38, v33
	v_dual_mul_f32 v82, 0xbf27a4f4, v64 :: v_dual_add_f32 v87, v73, v87
	v_dual_mul_f32 v33, 0xbf27a4f4, v34 :: v_dual_sub_f32 v58, v58, v59
	s_delay_alu instid0(VALU_DEP_3) | instskip(SKIP_3) | instid1(VALU_DEP_4)
	v_dual_mul_f32 v59, 0xbf27a4f4, v32 :: v_dual_add_f32 v38, v38, v35
	v_fmamk_f32 v86, v61, 0x3f0a6770, v44
	v_add_f32_e32 v89, v73, v89
	v_fmamk_f32 v91, v61, 0x3e903f40, v39
	v_add_f32_e32 v37, v38, v37
	s_delay_alu instid0(VALU_DEP_4) | instskip(NEXT) | instid1(VALU_DEP_1)
	v_dual_fmac_f32 v63, 0xbf68dda4, v61 :: v_dual_add_f32 v86, v73, v86
	v_dual_fmac_f32 v44, 0xbf0a6770, v61 :: v_dual_add_f32 v63, v73, v63
	s_delay_alu instid0(VALU_DEP_1) | instskip(SKIP_1) | instid1(VALU_DEP_2)
	v_dual_fmac_f32 v71, 0xbf7d64f0, v61 :: v_dual_add_f32 v44, v73, v44
	v_fmamk_f32 v92, v45, 0x3f4178ce, v82
	v_dual_fmac_f32 v82, 0xbf4178ce, v45 :: v_dual_add_f32 v71, v73, v71
	s_delay_alu instid0(VALU_DEP_1) | instskip(SKIP_4) | instid1(VALU_DEP_4)
	v_dual_add_f32 v36, v37, v36 :: v_dual_add_f32 v63, v82, v63
	v_fmamk_f32 v90, v61, 0x3f4178ce, v80
	v_fmac_f32_e32 v80, 0xbf4178ce, v61
	v_fmac_f32_e32 v39, 0xbe903f40, v61
	v_fmamk_f32 v61, v45, 0x3f68dda4, v81
	v_dual_fmac_f32 v81, 0xbf68dda4, v45 :: v_dual_add_f32 v90, v73, v90
	s_delay_alu instid0(VALU_DEP_4) | instskip(NEXT) | instid1(VALU_DEP_4)
	v_add_f32_e32 v38, v73, v80
	v_add_f32_e32 v39, v73, v39
	s_delay_alu instid0(VALU_DEP_4) | instskip(NEXT) | instid1(VALU_DEP_4)
	v_add_f32_e32 v61, v61, v86
	v_add_f32_e32 v37, v81, v44
	v_mul_f32_e32 v81, 0xbe11bafb, v64
	v_mul_f32_e32 v64, 0x3f575c64, v64
	s_delay_alu instid0(VALU_DEP_2) | instskip(SKIP_1) | instid1(VALU_DEP_3)
	v_fmamk_f32 v35, v45, 0xbf7d64f0, v81
	v_fmamk_f32 v44, v45, 0xbe903f40, v83
	;; [unrolled: 1-line block ×3, first 2 shown]
	v_fmac_f32_e32 v83, 0x3e903f40, v45
	v_fmac_f32_e32 v81, 0x3f7d64f0, v45
	s_delay_alu instid0(VALU_DEP_4) | instskip(SKIP_3) | instid1(VALU_DEP_2)
	v_dual_add_f32 v35, v35, v90 :: v_dual_add_f32 v44, v44, v89
	v_add_f32_e32 v80, v73, v91
	v_dual_fmac_f32 v64, 0x3f0a6770, v45 :: v_dual_add_f32 v73, v92, v87
	v_add_f32_e32 v71, v83, v71
	v_add_f32_e32 v39, v64, v39
	s_delay_alu instid0(VALU_DEP_4) | instskip(SKIP_2) | instid1(VALU_DEP_3)
	v_dual_add_f32 v45, v82, v80 :: v_dual_fmamk_f32 v80, v60, 0x3f7d64f0, v62
	v_fmac_f32_e32 v62, 0xbf7d64f0, v60
	v_mul_f32_e32 v64, 0x3ed4b147, v34
	v_dual_add_f32 v38, v81, v38 :: v_dual_add_f32 v61, v80, v61
	s_delay_alu instid0(VALU_DEP_2) | instskip(NEXT) | instid1(VALU_DEP_1)
	v_dual_add_f32 v37, v62, v37 :: v_dual_fmamk_f32 v62, v60, 0xbf68dda4, v64
	v_dual_mul_f32 v81, 0xbf75a155, v34 :: v_dual_add_f32 v44, v62, v44
	s_delay_alu instid0(VALU_DEP_1) | instskip(SKIP_1) | instid1(VALU_DEP_1)
	v_fmamk_f32 v80, v60, 0xbe903f40, v81
	v_fmac_f32_e32 v64, 0x3f68dda4, v60
	v_dual_fmac_f32 v81, 0x3e903f40, v60 :: v_dual_add_f32 v62, v64, v71
	s_delay_alu instid0(VALU_DEP_1) | instskip(NEXT) | instid1(VALU_DEP_4)
	v_add_f32_e32 v63, v81, v63
	v_add_f32_e32 v73, v80, v73
	v_fmamk_f32 v64, v60, 0x3f4178ce, v33
	s_delay_alu instid0(VALU_DEP_1) | instskip(NEXT) | instid1(VALU_DEP_1)
	v_dual_mul_f32 v80, 0x3f575c64, v34 :: v_dual_add_f32 v45, v64, v45
	v_fmamk_f32 v34, v60, 0x3f0a6770, v80
	v_fmac_f32_e32 v80, 0xbf0a6770, v60
	s_delay_alu instid0(VALU_DEP_1) | instskip(SKIP_3) | instid1(VALU_DEP_2)
	v_dual_add_f32 v34, v34, v35 :: v_dual_add_f32 v35, v80, v38
	v_fmamk_f32 v38, v58, 0x3f4178ce, v59
	v_fmac_f32_e32 v33, 0xbf4178ce, v60
	v_mul_f32_e32 v60, 0xbe11bafb, v32
	v_dual_add_f32 v38, v38, v61 :: v_dual_add_f32 v33, v33, v39
	v_mul_f32_e32 v39, 0x3f575c64, v32
	s_delay_alu instid0(VALU_DEP_1) | instskip(NEXT) | instid1(VALU_DEP_4)
	v_fmamk_f32 v64, v58, 0x3f0a6770, v39
	v_fmamk_f32 v61, v58, 0xbf7d64f0, v60
	v_fmac_f32_e32 v60, 0x3f7d64f0, v58
	s_delay_alu instid0(VALU_DEP_3) | instskip(NEXT) | instid1(VALU_DEP_2)
	v_dual_fmac_f32 v59, 0xbf4178ce, v58 :: v_dual_add_f32 v44, v64, v44
	v_dual_add_f32 v61, v61, v73 :: v_dual_add_f32 v60, v60, v63
	s_delay_alu instid0(VALU_DEP_2) | instskip(SKIP_2) | instid1(VALU_DEP_2)
	v_add_f32_e32 v37, v59, v37
	v_mul_f32_e32 v59, 0xbf75a155, v32
	v_mul_f32_e32 v32, 0x3ed4b147, v32
	v_fmamk_f32 v63, v58, 0x3e903f40, v59
	v_fmac_f32_e32 v59, 0xbe903f40, v58
	s_delay_alu instid0(VALU_DEP_2) | instskip(SKIP_1) | instid1(VALU_DEP_2)
	v_dual_add_f32 v7, v63, v34 :: v_dual_fmamk_f32 v34, v58, 0xbf68dda4, v32
	v_fmac_f32_e32 v32, 0x3f68dda4, v58
	v_dual_fmac_f32 v39, 0xbf0a6770, v58 :: v_dual_add_f32 v34, v34, v45
	s_delay_alu instid0(VALU_DEP_2) | instskip(SKIP_1) | instid1(VALU_DEP_2)
	v_dual_add_f32 v32, v32, v33 :: v_dual_mul_f32 v57, 0xbf75a155, v6
	v_mul_f32_e32 v33, 0xbf27a4f4, v6
	v_dual_add_f32 v39, v39, v62 :: v_dual_fmamk_f32 v58, v56, 0x3e903f40, v57
	s_delay_alu instid0(VALU_DEP_1) | instskip(NEXT) | instid1(VALU_DEP_3)
	v_dual_fmac_f32 v57, 0xbe903f40, v56 :: v_dual_add_f32 v38, v58, v38
	v_fmamk_f32 v58, v56, 0x3f4178ce, v33
	v_fmac_f32_e32 v33, 0xbf4178ce, v56
	v_mul_f32_e32 v45, 0x3f575c64, v6
	s_delay_alu instid0(VALU_DEP_3) | instskip(SKIP_1) | instid1(VALU_DEP_3)
	v_dual_add_f32 v37, v57, v37 :: v_dual_add_f32 v44, v58, v44
	v_add_f32_e32 v35, v59, v35
	v_fmamk_f32 v59, v56, 0xbf0a6770, v45
	v_fmac_f32_e32 v45, 0x3f0a6770, v56
	s_delay_alu instid0(VALU_DEP_2) | instskip(SKIP_1) | instid1(VALU_DEP_1)
	v_add_f32_e32 v57, v59, v61
	v_mul_f32_e32 v59, 0x3ed4b147, v6
	v_dual_add_f32 v45, v45, v60 :: v_dual_fmamk_f32 v58, v56, 0xbf68dda4, v59
	v_mul_f32_e32 v6, 0xbe11bafb, v6
	v_fmac_f32_e32 v59, 0x3f68dda4, v56
	s_delay_alu instid0(VALU_DEP_2) | instskip(NEXT) | instid1(VALU_DEP_2)
	v_dual_add_f32 v7, v58, v7 :: v_dual_fmamk_f32 v60, v56, 0x3f7d64f0, v6
	v_dual_fmac_f32 v6, 0xbf7d64f0, v56 :: v_dual_add_f32 v35, v59, v35
	s_delay_alu instid0(VALU_DEP_2) | instskip(NEXT) | instid1(VALU_DEP_2)
	v_add_f32_e32 v34, v60, v34
	v_add_f32_e32 v6, v6, v32
	;; [unrolled: 1-line block ×3, first 2 shown]
	ds_store_2addr_b32 v46, v36, v38 offset1:7
	ds_store_2addr_b32 v46, v57, v44 offset0:14 offset1:21
	ds_store_2addr_b32 v46, v7, v34 offset0:28 offset1:35
	;; [unrolled: 1-line block ×4, first 2 shown]
	ds_store_b32 v46, v37 offset:280
.LBB0_21:
	s_wait_alu 0xfffe
	s_or_b32 exec_lo, exec_lo, s1
	v_dual_mov_b32 v45, 0 :: v_dual_lshlrev_b32 v44, 2, v114
	v_subrev_nc_u32_e32 v32, 22, v114
	v_cmp_gt_u32_e64 s0, 22, v114
	global_wb scope:SCOPE_SE
	s_wait_dscnt 0x0
	s_barrier_signal -1
	v_lshlrev_b64_e32 v[6:7], 3, v[44:45]
	s_barrier_wait -1
	s_wait_alu 0xf1ff
	v_cndmask_b32_e64 v32, v32, v115, s0
	global_inv scope:SCOPE_SE
	v_add_co_u32 v46, s0, s8, v6
	s_wait_alu 0xf1ff
	v_add_co_ci_u32_e64 v47, s0, s9, v7, s0
	global_load_b128 v[89:92], v[46:47], off offset:576
	v_lshlrev_b32_e32 v44, 2, v32
	v_mul_lo_u16 v32, 0xd5, v72
	global_load_b128 v[61:64], v[46:47], off offset:560
	v_lshlrev_b64_e32 v[6:7], 3, v[44:45]
	v_lshrrev_b16 v34, 14, v32
	v_mul_lo_u16 v32, 0xd5, v74
	s_delay_alu instid0(VALU_DEP_3) | instskip(SKIP_1) | instid1(VALU_DEP_4)
	v_add_co_u32 v6, s0, s8, v6
	s_wait_alu 0xf1ff
	v_add_co_ci_u32_e64 v7, s0, s9, v7, s0
	v_cmp_lt_u32_e64 s0, 21, v114
	s_clause 0x1
	global_load_b128 v[93:96], v[6:7], off offset:560
	global_load_b128 v[71:74], v[6:7], off offset:576
	v_mul_lo_u16 v6, 0x4d, v34
	v_lshrrev_b16 v7, 14, v32
	v_add_nc_u32_e32 v32, 0x113, v114
	v_add_nc_u32_e32 v33, 0x14a, v114
	s_delay_alu instid0(VALU_DEP_4) | instskip(NEXT) | instid1(VALU_DEP_4)
	v_sub_nc_u16 v6, v116, v6
	v_mul_lo_u16 v7, 0x4d, v7
	s_delay_alu instid0(VALU_DEP_2) | instskip(NEXT) | instid1(VALU_DEP_2)
	v_and_b32_e32 v58, 0xff, v6
	v_sub_nc_u16 v6, v117, v7
	s_delay_alu instid0(VALU_DEP_2) | instskip(NEXT) | instid1(VALU_DEP_2)
	v_lshlrev_b32_e32 v7, 5, v58
	v_and_b32_e32 v35, 0xff, v6
	global_load_b128 v[99:102], v7, s[8:9] offset:560
	v_lshlrev_b32_e32 v6, 5, v35
	s_clause 0x2
	global_load_b128 v[103:106], v7, s[8:9] offset:576
	global_load_b128 v[107:110], v6, s[8:9] offset:560
	;; [unrolled: 1-line block ×3, first 2 shown]
	v_and_b32_e32 v6, 0xffff, v118
	v_and_b32_e32 v7, 0xffff, v33
	s_delay_alu instid0(VALU_DEP_2) | instskip(NEXT) | instid1(VALU_DEP_1)
	v_mul_u32_u24_e32 v6, 0x1a99, v6
	v_lshrrev_b32_e32 v36, 19, v6
	s_delay_alu instid0(VALU_DEP_1) | instskip(NEXT) | instid1(VALU_DEP_1)
	v_mul_lo_u16 v6, 0x4d, v36
	v_sub_nc_u16 v6, v118, v6
	s_delay_alu instid0(VALU_DEP_1) | instskip(NEXT) | instid1(VALU_DEP_1)
	v_and_b32_e32 v59, 0xffff, v6
	v_lshlrev_b32_e32 v6, 5, v59
	s_clause 0x1
	global_load_b128 v[123:126], v6, s[8:9] offset:560
	global_load_b128 v[127:130], v6, s[8:9] offset:576
	v_and_b32_e32 v6, 0xffff, v32
	s_delay_alu instid0(VALU_DEP_1) | instskip(NEXT) | instid1(VALU_DEP_1)
	v_mul_u32_u24_e32 v6, 0x1a99, v6
	v_lshrrev_b32_e32 v56, 19, v6
	v_mul_u32_u24_e32 v6, 0x1a99, v7
	s_delay_alu instid0(VALU_DEP_2) | instskip(NEXT) | instid1(VALU_DEP_2)
	v_mul_lo_u16 v7, 0x4d, v56
	v_lshrrev_b32_e32 v6, 19, v6
	s_delay_alu instid0(VALU_DEP_2) | instskip(NEXT) | instid1(VALU_DEP_2)
	v_sub_nc_u16 v7, v32, v7
	v_mul_lo_u16 v6, 0x4d, v6
	s_delay_alu instid0(VALU_DEP_2) | instskip(NEXT) | instid1(VALU_DEP_2)
	v_and_b32_e32 v82, 0xffff, v7
	v_sub_nc_u16 v6, v33, v6
	s_delay_alu instid0(VALU_DEP_2) | instskip(NEXT) | instid1(VALU_DEP_2)
	v_lshlrev_b32_e32 v7, 5, v82
	v_and_b32_e32 v57, 0xffff, v6
	global_load_b128 v[131:134], v7, s[8:9] offset:560
	v_lshlrev_b32_e32 v6, 5, v57
	s_clause 0x2
	global_load_b128 v[135:138], v7, s[8:9] offset:576
	global_load_b128 v[139:142], v6, s[8:9] offset:560
	;; [unrolled: 1-line block ×3, first 2 shown]
	ds_load_2addr_b32 v[80:81], v48 offset0:129 offset1:184
	ds_load_2addr_b32 v[111:112], v49 offset0:75 offset1:130
	;; [unrolled: 1-line block ×6, first 2 shown]
	ds_load_b32 v83, v84
	ds_load_b32 v37, v85
	ds_load_2addr_b32 v[155:156], v66 offset0:111 offset1:166
	ds_load_2addr_b32 v[157:158], v67 offset0:113 offset1:168
	ds_load_b32 v38, v88
	ds_load_2addr_b32 v[159:160], v65 offset0:167 offset1:222
	ds_load_2addr_b32 v[161:162], v68 offset0:169 offset1:224
	ds_load_b32 v86, v98
	ds_load_b32 v39, v78
	ds_load_2addr_b32 v[163:164], v69 offset0:93 offset1:148
	ds_load_2addr_b32 v[165:166], v70 offset0:95 offset1:150
	;; [unrolled: 1-line block ×5, first 2 shown]
	global_wb scope:SCOPE_SE
	s_wait_loadcnt_dscnt 0x0
	s_barrier_signal -1
	s_barrier_wait -1
	global_inv scope:SCOPE_SE
	v_mul_f32_e32 v97, v147, v90
	v_mul_f32_e32 v113, v150, v92
	;; [unrolled: 1-line block ×4, first 2 shown]
	s_delay_alu instid0(VALU_DEP_4) | instskip(NEXT) | instid1(VALU_DEP_4)
	v_dual_mul_f32 v64, v3, v64 :: v_dual_fmac_f32 v97, v28, v89
	v_dual_fmac_f32 v113, v5, v91 :: v_dual_mul_f32 v90, v28, v90
	s_delay_alu instid0(VALU_DEP_3) | instskip(NEXT) | instid1(VALU_DEP_3)
	v_dual_fmac_f32 v87, v3, v63 :: v_dual_lshlrev_b32 v60, 2, v58
	v_fma_f32 v3, v112, v63, -v64
	s_delay_alu instid0(VALU_DEP_3) | instskip(NEXT) | instid1(VALU_DEP_4)
	v_sub_f32_e32 v171, v97, v113
	v_fma_f32 v28, v147, v89, -v90
	s_delay_alu instid0(VALU_DEP_1) | instskip(SKIP_4) | instid1(VALU_DEP_3)
	v_dual_sub_f32 v112, v113, v97 :: v_dual_add_f32 v173, v3, v28
	v_dual_mul_f32 v63, v151, v96 :: v_dual_lshlrev_b32 v58, 2, v82
	v_mul_f32_e32 v82, v80, v62
	v_mul_f32_e32 v62, v30, v62
	v_dual_mul_f32 v5, v31, v94 :: v_dual_mul_f32 v64, v26, v96
	v_dual_mul_f32 v89, v153, v74 :: v_dual_fmac_f32 v82, v30, v61
	v_lshlrev_b32_e32 v59, 2, v59
	s_delay_alu instid0(VALU_DEP_4)
	v_fma_f32 v30, v80, v61, -v62
	v_fma_f32 v61, v150, v91, -v92
	v_mul_f32_e32 v62, v81, v94
	v_mul_f32_e32 v80, v148, v72
	;; [unrolled: 1-line block ×3, first 2 shown]
	v_dual_mul_f32 v74, v24, v74 :: v_dual_sub_f32 v175, v30, v3
	v_dual_add_f32 v90, v51, v82 :: v_dual_add_f32 v177, v30, v61
	v_add_f32_e32 v91, v87, v97
	v_sub_f32_e32 v92, v30, v61
	v_dual_add_f32 v147, v82, v113 :: v_dual_sub_f32 v150, v87, v82
	v_dual_add_f32 v172, v86, v30 :: v_dual_fmac_f32 v89, v24, v73
	v_dual_mul_f32 v179, v155, v100 :: v_dual_mul_f32 v182, v154, v106
	v_mul_f32_e32 v183, v156, v108
	v_dual_mul_f32 v180, v152, v102 :: v_dual_mul_f32 v185, v158, v120
	v_sub_f32_e32 v176, v61, v28
	v_mul_f32_e32 v102, v27, v102
	v_dual_sub_f32 v94, v3, v28 :: v_dual_fmac_f32 v63, v26, v95
	v_dual_sub_f32 v96, v82, v87 :: v_dual_mul_f32 v181, v157, v104
	v_sub_f32_e32 v82, v82, v113
	v_sub_f32_e32 v174, v87, v97
	v_dual_sub_f32 v30, v3, v30 :: v_dual_fmac_f32 v179, v22, v99
	s_delay_alu instid0(VALU_DEP_4)
	v_dual_mul_f32 v100, v22, v100 :: v_dual_fmac_f32 v181, v20, v103
	v_mul_f32_e32 v106, v25, v106
	v_mul_f32_e32 v108, v23, v108
	;; [unrolled: 1-line block ×3, first 2 shown]
	v_fma_f32 v26, v151, v95, -v64
	v_fmac_f32_e32 v80, v29, v71
	v_fma_f32 v64, v148, v71, -v72
	v_fma_f32 v71, v153, v73, -v74
	v_fma_f32 v24, -0.5, v91, v51
	v_dual_fmac_f32 v51, -0.5, v147 :: v_dual_fmac_f32 v62, v31, v93
	v_fma_f32 v31, v81, v93, -v5
	v_dual_add_f32 v5, v90, v87 :: v_dual_mul_f32 v184, v159, v110
	v_dual_add_f32 v73, v150, v171 :: v_dual_sub_f32 v178, v28, v61
	v_add_f32_e32 v81, v175, v176
	v_mul_f32_e32 v104, v20, v104
	v_add_f32_e32 v74, v172, v3
	v_fma_f32 v3, -0.5, v173, v86
	v_dual_mul_f32 v110, v16, v110 :: v_dual_fmac_f32 v183, v23, v107
	v_fmac_f32_e32 v185, v21, v119
	v_fma_f32 v91, v152, v101, -v102
	v_mul_f32_e32 v21, v14, v124
	v_dual_mul_f32 v23, v12, v128 :: v_dual_fmac_f32 v182, v25, v105
	v_mul_f32_e32 v25, v19, v130
	v_mul_f32_e32 v186, v161, v122
	v_mul_f32_e32 v102, v163, v124
	v_mul_f32_e32 v122, v18, v122
	v_add_f32_e32 v72, v96, v112
	v_dual_fmac_f32 v86, -0.5, v177 :: v_dual_add_f32 v87, v30, v178
	v_fma_f32 v90, v155, v99, -v100
	v_fmac_f32_e32 v180, v27, v101
	v_fma_f32 v93, v157, v103, -v104
	v_fma_f32 v95, v154, v105, -v106
	v_mul_f32_e32 v29, v160, v126
	v_fma_f32 v96, v156, v107, -v108
	v_dual_mul_f32 v30, v165, v128 :: v_dual_mul_f32 v103, v162, v130
	v_fma_f32 v100, v158, v119, -v120
	v_mul_f32_e32 v22, v17, v126
	v_add_f32_e32 v97, v5, v97
	v_dual_fmac_f32 v184, v16, v109 :: v_dual_fmamk_f32 v5, v82, 0x3f737871, v3
	v_fma_f32 v99, v159, v109, -v110
	v_fmac_f32_e32 v3, 0xbf737871, v82
	v_dual_add_f32 v105, v63, v80 :: v_dual_fmac_f32 v186, v18, v121
	v_sub_f32_e32 v107, v26, v64
	v_dual_add_f32 v74, v74, v28 :: v_dual_add_f32 v159, v37, v90
	v_dual_sub_f32 v119, v80, v89 :: v_dual_sub_f32 v124, v31, v26
	v_add_f32_e32 v128, v31, v71
	v_dual_fmac_f32 v102, v14, v123 :: v_dual_fmac_f32 v3, 0xbf167918, v174
	v_fma_f32 v123, v163, v123, -v21
	v_mul_f32_e32 v27, v167, v134
	v_dual_sub_f32 v106, v31, v71 :: v_dual_add_f32 v175, v184, v185
	v_dual_fmamk_f32 v20, v92, 0xbf737871, v24 :: v_dual_fmac_f32 v29, v17, v125
	v_mul_f32_e32 v21, v111, v140
	v_add_f32_e32 v120, v83, v31
	v_sub_f32_e32 v31, v26, v31
	v_dual_fmamk_f32 v18, v94, 0x3f737871, v51 :: v_dual_sub_f32 v157, v180, v179
	v_fmac_f32_e32 v51, 0xbf737871, v94
	v_dual_add_f32 v104, v55, v62 :: v_dual_sub_f32 v163, v90, v91
	v_dual_fmac_f32 v24, 0x3f737871, v92 :: v_dual_sub_f32 v153, v91, v93
	v_sub_f32_e32 v109, v89, v80
	v_fma_f32 v101, v161, v121, -v122
	v_dual_add_f32 v110, v62, v89 :: v_dual_sub_f32 v177, v99, v100
	v_add_f32_e32 v121, v26, v64
	v_dual_sub_f32 v126, v71, v64 :: v_dual_add_f32 v17, v74, v61
	v_dual_sub_f32 v130, v64, v71 :: v_dual_fmac_f32 v5, 0x3f167918, v174
	v_fmac_f32_e32 v103, v19, v129
	v_fma_f32 v125, v160, v125, -v22
	v_dual_mul_f32 v147, v164, v132 :: v_dual_fmamk_f32 v16, v174, 0xbf737871, v86
	v_sub_f32_e32 v161, v179, v182
	v_dual_fmac_f32 v86, 0x3f737871, v174 :: v_dual_sub_f32 v155, v182, v181
	v_dual_mul_f32 v132, v15, v132 :: v_dual_add_f32 v61, v104, v63
	v_add_f32_e32 v151, v180, v181
	v_fmac_f32_e32 v30, v12, v127
	v_fma_f32 v127, v165, v127, -v23
	v_dual_mul_f32 v12, v168, v142 :: v_dual_fmac_f32 v21, v2, v139
	v_add_f32_e32 v156, v179, v182
	v_fma_f32 v23, -0.5, v105, v55
	v_add_f32_e32 v160, v91, v93
	v_dual_sub_f32 v108, v62, v63 :: v_dual_sub_f32 v165, v95, v93
	v_dual_sub_f32 v112, v63, v62 :: v_dual_add_f32 v171, v90, v95
	v_dual_sub_f32 v122, v63, v80 :: v_dual_add_f32 v173, v50, v183
	s_delay_alu instid0(VALU_DEP_3)
	v_dual_mul_f32 v134, v10, v134 :: v_dual_add_f32 v63, v108, v109
	v_dual_add_f32 v150, v53, v179 :: v_dual_fmac_f32 v5, 0x3e9e377a, v81
	v_mul_f32_e32 v142, v11, v142
	v_dual_sub_f32 v154, v179, v180 :: v_dual_fmac_f32 v3, 0x3e9e377a, v81
	v_dual_sub_f32 v158, v181, v182 :: v_dual_sub_f32 v179, v186, v185
	v_dual_fmac_f32 v51, 0x3f167918, v92 :: v_dual_mul_f32 v148, v169, v138
	v_dual_mul_f32 v138, v8, v138 :: v_dual_fmac_f32 v27, v10, v133
	v_fmac_f32_e32 v86, 0xbf167918, v82
	v_fmac_f32_e32 v55, -0.5, v110
	v_fma_f32 v19, -0.5, v121, v83
	v_dual_fmac_f32 v83, -0.5, v128 :: v_dual_fmac_f32 v12, v11, v141
	v_add_f32_e32 v10, v159, v91
	v_dual_fmac_f32 v20, 0xbf167918, v94 :: v_dual_add_f32 v11, v61, v80
	v_mul_f32_e32 v22, v170, v146
	v_fmac_f32_e32 v24, 0x3f167918, v94
	v_fmamk_f32 v61, v106, 0xbf737871, v23
	v_dual_mul_f32 v140, v2, v140 :: v_dual_fmac_f32 v23, 0x3f737871, v106
	v_fmac_f32_e32 v16, 0x3f167918, v82
	v_fma_f32 v2, -0.5, v160, v37
	v_add_f32_e32 v82, v120, v26
	v_fma_f32 v26, -0.5, v151, v53
	v_dual_fmac_f32 v53, -0.5, v156 :: v_dual_sub_f32 v62, v62, v89
	v_add_f32_e32 v187, v183, v186
	v_fma_f32 v129, v162, v129, -v25
	v_dual_mul_f32 v28, v166, v136 :: v_dual_add_f32 v31, v31, v130
	v_mul_f32_e32 v14, v149, v144
	v_dual_mul_f32 v146, v9, v146 :: v_dual_fmac_f32 v51, 0x3e9e377a, v73
	v_sub_f32_e32 v152, v90, v95
	v_sub_f32_e32 v162, v180, v181
	;; [unrolled: 1-line block ×3, first 2 shown]
	v_dual_fmac_f32 v18, 0xbf167918, v92 :: v_dual_fmac_f32 v61, 0xbf167918, v107
	v_dual_add_f32 v74, v112, v119 :: v_dual_add_f32 v119, v173, v184
	v_sub_f32_e32 v178, v183, v184
	v_fmac_f32_e32 v86, 0x3e9e377a, v87
	v_fmamk_f32 v80, v153, 0x3f737871, v53
	v_fmac_f32_e32 v53, 0xbf737871, v153
	v_dual_fmac_f32 v22, v9, v145 :: v_dual_add_f32 v9, v150, v180
	v_dual_add_f32 v81, v10, v93 :: v_dual_fmac_f32 v20, 0x3e9e377a, v72
	v_fmac_f32_e32 v61, 0x3e9e377a, v63
	v_fmac_f32_e32 v23, 0x3f167918, v107
	v_dual_fmac_f32 v16, 0x3e9e377a, v87 :: v_dual_add_f32 v87, v11, v89
	v_fmac_f32_e32 v24, 0x3e9e377a, v72
	v_fmamk_f32 v72, v107, 0x3f737871, v55
	v_dual_fmac_f32 v55, 0xbf737871, v107 :: v_dual_fmac_f32 v148, v8, v137
	v_fmamk_f32 v8, v122, 0xbf737871, v83
	v_dual_fmac_f32 v83, 0x3f737871, v122 :: v_dual_mul_f32 v136, v13, v136
	v_dual_fmac_f32 v147, v15, v131 :: v_dual_mul_f32 v144, v4, v144
	v_dual_fmac_f32 v37, -0.5, v171 :: v_dual_sub_f32 v90, v91, v90
	v_dual_fmac_f32 v28, v13, v135 :: v_dual_add_f32 v91, v163, v165
	s_delay_alu instid0(VALU_DEP_4) | instskip(SKIP_3) | instid1(VALU_DEP_4)
	v_dual_fmac_f32 v14, v4, v143 :: v_dual_fmac_f32 v83, 0xbf167918, v62
	v_fma_f32 v15, -0.5, v175, v50
	v_dual_add_f32 v13, v82, v64 :: v_dual_add_f32 v64, v9, v181
	v_fmamk_f32 v9, v161, 0x3f737871, v2
	v_fmac_f32_e32 v83, 0x3e9e377a, v31
	v_fmac_f32_e32 v55, 0x3f167918, v106
	;; [unrolled: 1-line block ×3, first 2 shown]
	v_fmamk_f32 v73, v152, 0xbf737871, v26
	v_fmac_f32_e32 v23, 0x3e9e377a, v63
	v_add_f32_e32 v63, v178, v179
	v_fmac_f32_e32 v55, 0x3e9e377a, v74
	v_fmac_f32_e32 v72, 0xbf167918, v106
	v_fmac_f32_e32 v50, -0.5, v187
	v_sub_f32_e32 v172, v93, v95
	v_dual_add_f32 v25, v97, v113 :: v_dual_add_f32 v112, v154, v155
	v_fmac_f32_e32 v9, 0x3f167918, v162
	v_dual_add_f32 v113, v157, v158 :: v_dual_fmamk_f32 v4, v62, 0x3f737871, v19
	v_fmac_f32_e32 v19, 0xbf737871, v62
	v_fmac_f32_e32 v26, 0x3f737871, v152
	v_dual_fmamk_f32 v82, v176, 0xbf737871, v15 :: v_dual_add_f32 v11, v13, v71
	v_dual_fmac_f32 v8, 0x3f167918, v62 :: v_dual_fmac_f32 v53, 0x3f167918, v152
	v_add_f32_e32 v62, v64, v182
	v_dual_fmac_f32 v72, 0x3e9e377a, v74 :: v_dual_fmac_f32 v9, 0x3e9e377a, v91
	v_dual_fmac_f32 v15, 0x3f737871, v176 :: v_dual_fmamk_f32 v64, v177, 0x3f737871, v50
	v_dual_sub_f32 v71, v184, v183 :: v_dual_sub_f32 v74, v185, v186
	v_fmamk_f32 v10, v162, 0xbf737871, v37
	v_fmac_f32_e32 v37, 0x3f737871, v162
	v_fmac_f32_e32 v50, 0xbf737871, v177
	v_dual_add_f32 v90, v90, v172 :: v_dual_add_f32 v13, v81, v95
	v_dual_fmac_f32 v2, 0xbf737871, v161 :: v_dual_add_f32 v89, v99, v100
	v_dual_fmac_f32 v26, 0x3f167918, v153 :: v_dual_sub_f32 v93, v101, v100
	v_fmac_f32_e32 v37, 0xbf167918, v161
	v_add_f32_e32 v81, v38, v96
	v_dual_fmac_f32 v64, 0xbf167918, v176 :: v_dual_add_f32 v71, v71, v74
	v_fmac_f32_e32 v10, 0x3f167918, v161
	v_fmac_f32_e32 v50, 0x3f167918, v176
	v_dual_add_f32 v92, v124, v126 :: v_dual_fmac_f32 v73, 0xbf167918, v153
	v_fmac_f32_e32 v19, 0xbf167918, v122
	v_dual_fmac_f32 v26, 0x3e9e377a, v112 :: v_dual_fmac_f32 v37, 0x3e9e377a, v90
	v_dual_fmac_f32 v15, 0x3f167918, v177 :: v_dual_add_f32 v74, v81, v99
	v_dual_sub_f32 v81, v183, v186 :: v_dual_fmac_f32 v82, 0xbf167918, v177
	v_fmac_f32_e32 v64, 0x3e9e377a, v71
	v_dual_fmac_f32 v50, 0x3e9e377a, v71 :: v_dual_sub_f32 v71, v99, v96
	v_fmac_f32_e32 v10, 0x3e9e377a, v90
	v_fma_f32 v90, -0.5, v89, v38
	v_dual_sub_f32 v89, v184, v185 :: v_dual_fmac_f32 v8, 0x3e9e377a, v31
	v_dual_add_f32 v31, v119, v185 :: v_dual_fmac_f32 v4, 0x3f167918, v122
	v_dual_fmac_f32 v19, 0x3e9e377a, v92 :: v_dual_fmac_f32 v82, 0x3e9e377a, v63
	v_fmac_f32_e32 v15, 0x3e9e377a, v63
	v_add_f32_e32 v63, v74, v100
	s_delay_alu instid0(VALU_DEP_4) | instskip(SKIP_2) | instid1(VALU_DEP_4)
	v_fmac_f32_e32 v4, 0x3e9e377a, v92
	v_add_f32_e32 v74, v96, v101
	v_sub_f32_e32 v92, v96, v99
	v_dual_fmac_f32 v80, 0xbf167918, v152 :: v_dual_add_f32 v95, v63, v101
	v_fmac_f32_e32 v2, 0xbf167918, v162
	s_delay_alu instid0(VALU_DEP_3) | instskip(SKIP_2) | instid1(VALU_DEP_4)
	v_dual_fmac_f32 v38, -0.5, v74 :: v_dual_add_f32 v63, v92, v93
	v_dual_add_f32 v93, v29, v30 :: v_dual_sub_f32 v96, v123, v129
	v_dual_sub_f32 v74, v100, v101 :: v_dual_add_f32 v101, v102, v103
	v_fmac_f32_e32 v2, 0x3e9e377a, v91
	v_fmamk_f32 v91, v81, 0x3f737871, v90
	s_delay_alu instid0(VALU_DEP_3)
	v_dual_fmac_f32 v90, 0xbf737871, v81 :: v_dual_add_f32 v71, v71, v74
	v_add_f32_e32 v74, v52, v102
	v_fma_f32 v93, -0.5, v93, v52
	v_dual_fmac_f32 v52, -0.5, v101 :: v_dual_add_f32 v101, v39, v123
	v_fmamk_f32 v92, v89, 0xbf737871, v38
	v_fmac_f32_e32 v38, 0x3f737871, v89
	v_fmac_f32_e32 v91, 0x3f167918, v89
	v_dual_fmac_f32 v90, 0xbf167918, v89 :: v_dual_sub_f32 v89, v125, v127
	s_delay_alu instid0(VALU_DEP_4) | instskip(SKIP_4) | instid1(VALU_DEP_3)
	v_fmac_f32_e32 v92, 0x3f167918, v81
	v_dual_sub_f32 v99, v102, v29 :: v_dual_sub_f32 v100, v103, v30
	v_fmac_f32_e32 v38, 0xbf167918, v81
	v_dual_fmac_f32 v80, 0x3e9e377a, v113 :: v_dual_fmac_f32 v91, 0x3e9e377a, v63
	v_dual_fmac_f32 v90, 0x3e9e377a, v63 :: v_dual_add_f32 v63, v74, v29
	v_dual_add_f32 v81, v99, v100 :: v_dual_fmac_f32 v38, 0x3e9e377a, v71
	v_dual_sub_f32 v99, v29, v102 :: v_dual_sub_f32 v100, v30, v103
	v_dual_sub_f32 v29, v29, v30 :: v_dual_fmac_f32 v92, 0x3e9e377a, v71
	v_fmamk_f32 v71, v89, 0x3f737871, v52
	v_dual_fmac_f32 v52, 0xbf737871, v89 :: v_dual_sub_f32 v107, v147, v27
	s_delay_alu instid0(VALU_DEP_4) | instskip(SKIP_1) | instid1(VALU_DEP_4)
	v_add_f32_e32 v99, v99, v100
	v_fma_f32 v97, v167, v133, -v134
	v_fmac_f32_e32 v71, 0xbf167918, v96
	v_fma_f32 v104, v166, v135, -v136
	v_dual_add_f32 v63, v63, v30 :: v_dual_add_f32 v106, v125, v127
	s_delay_alu instid0(VALU_DEP_3) | instskip(SKIP_2) | instid1(VALU_DEP_4)
	v_dual_sub_f32 v30, v123, v125 :: v_dual_fmac_f32 v71, 0x3e9e377a, v99
	v_fmamk_f32 v74, v96, 0xbf737871, v93
	v_fmac_f32_e32 v93, 0x3f737871, v96
	v_add_f32_e32 v63, v63, v103
	v_fma_f32 v100, -0.5, v106, v39
	v_fmac_f32_e32 v73, 0x3e9e377a, v112
	v_fmac_f32_e32 v74, 0xbf167918, v89
	;; [unrolled: 1-line block ×3, first 2 shown]
	v_add_f32_e32 v89, v101, v125
	v_sub_f32_e32 v101, v102, v103
	v_sub_f32_e32 v102, v129, v127
	v_fmac_f32_e32 v74, 0x3e9e377a, v81
	v_fmac_f32_e32 v93, 0x3e9e377a, v81
	v_add_f32_e32 v81, v89, v127
	v_add_f32_e32 v89, v123, v129
	;; [unrolled: 1-line block ×3, first 2 shown]
	v_fmac_f32_e32 v52, 0x3f167918, v96
	v_fmamk_f32 v96, v101, 0x3f737871, v100
	s_delay_alu instid0(VALU_DEP_4) | instskip(NEXT) | instid1(VALU_DEP_4)
	v_dual_add_f32 v30, v30, v102 :: v_dual_fmac_f32 v39, -0.5, v89
	v_fma_f32 v103, -0.5, v103, v0
	v_sub_f32_e32 v112, v148, v28
	v_fma_f32 v94, v164, v131, -v132
	v_fmac_f32_e32 v53, 0x3e9e377a, v113
	v_fmamk_f32 v102, v29, 0xbf737871, v39
	v_fmac_f32_e32 v39, 0x3f737871, v29
	v_fmac_f32_e32 v100, 0xbf737871, v101
	v_sub_f32_e32 v89, v127, v129
	v_dual_add_f32 v113, v147, v148 :: v_dual_fmac_f32 v96, 0x3f167918, v29
	v_fmac_f32_e32 v102, 0x3f167918, v101
	v_fmac_f32_e32 v39, 0xbf167918, v101
	v_add_f32_e32 v101, v107, v112
	v_sub_f32_e32 v107, v27, v147
	v_dual_fmac_f32 v52, 0x3e9e377a, v99 :: v_dual_add_f32 v99, v81, v129
	v_sub_f32_e32 v81, v125, v123
	v_fma_f32 v105, v169, v137, -v138
	v_add_f32_e32 v119, v97, v104
	v_fma_f32 v108, v111, v139, -v140
	v_fma_f32 v111, v170, v145, -v146
	v_add_f32_e32 v81, v81, v89
	v_add_f32_e32 v89, v0, v147
	v_fma_f32 v0, -0.5, v113, v0
	v_sub_f32_e32 v106, v94, v105
	v_dual_add_f32 v113, v6, v94 :: v_dual_fmac_f32 v100, 0xbf167918, v29
	s_delay_alu instid0(VALU_DEP_4) | instskip(SKIP_3) | instid1(VALU_DEP_4)
	v_add_f32_e32 v29, v89, v27
	v_sub_f32_e32 v89, v97, v104
	v_dual_sub_f32 v112, v28, v148 :: v_dual_fmac_f32 v39, 0x3e9e377a, v81
	v_sub_f32_e32 v27, v27, v28
	v_add_f32_e32 v29, v29, v28
	v_fma_f32 v109, v168, v141, -v142
	s_delay_alu instid0(VALU_DEP_4) | instskip(SKIP_1) | instid1(VALU_DEP_4)
	v_dual_add_f32 v107, v107, v112 :: v_dual_fmac_f32 v102, 0x3e9e377a, v81
	v_fmamk_f32 v81, v89, 0x3f737871, v0
	v_dual_add_f32 v29, v29, v148 :: v_dual_fmac_f32 v96, 0x3e9e377a, v30
	v_fmac_f32_e32 v0, 0xbf737871, v89
	v_fma_f32 v112, -0.5, v119, v6
	s_delay_alu instid0(VALU_DEP_4)
	v_fmac_f32_e32 v81, 0xbf167918, v106
	v_fmac_f32_e32 v100, 0x3e9e377a, v30
	v_fmamk_f32 v30, v106, 0xbf737871, v103
	v_fmac_f32_e32 v103, 0x3f737871, v106
	v_fmac_f32_e32 v0, 0x3f167918, v106
	v_dual_add_f32 v106, v94, v105 :: v_dual_fmac_f32 v81, 0x3e9e377a, v107
	s_delay_alu instid0(VALU_DEP_4) | instskip(NEXT) | instid1(VALU_DEP_4)
	v_fmac_f32_e32 v30, 0xbf167918, v89
	v_fmac_f32_e32 v103, 0x3f167918, v89
	v_add_f32_e32 v89, v113, v97
	v_sub_f32_e32 v113, v147, v148
	v_fma_f32 v6, -0.5, v106, v6
	v_dual_fmac_f32 v30, 0x3e9e377a, v101 :: v_dual_sub_f32 v119, v105, v104
	v_fmac_f32_e32 v103, 0x3e9e377a, v101
	s_delay_alu instid0(VALU_DEP_4) | instskip(SKIP_3) | instid1(VALU_DEP_4)
	v_fmamk_f32 v101, v113, 0x3f737871, v112
	v_dual_add_f32 v89, v89, v104 :: v_dual_sub_f32 v28, v94, v97
	v_fmac_f32_e32 v112, 0xbf737871, v113
	v_fma_f32 v110, v149, v143, -v144
	v_fmac_f32_e32 v101, 0x3f167918, v27
	v_fmac_f32_e32 v0, 0x3e9e377a, v107
	v_dual_fmamk_f32 v107, v27, 0xbf737871, v6 :: v_dual_add_f32 v28, v28, v119
	v_dual_fmac_f32 v6, 0x3f737871, v27 :: v_dual_add_f32 v119, v21, v22
	ds_store_2addr_b32 v98, v25, v20 offset1:77
	v_fmac_f32_e32 v107, 0x3f167918, v113
	v_dual_add_f32 v106, v89, v105 :: v_dual_fmac_f32 v101, 0x3e9e377a, v28
	v_sub_f32_e32 v89, v97, v94
	v_dual_add_f32 v97, v12, v14 :: v_dual_fmac_f32 v112, 0xbf167918, v27
	v_add_f32_e32 v27, v1, v21
	v_sub_f32_e32 v94, v104, v105
	v_dual_fmac_f32 v6, 0xbf167918, v113 :: v_dual_sub_f32 v105, v21, v12
	s_delay_alu instid0(VALU_DEP_3) | instskip(NEXT) | instid1(VALU_DEP_3)
	v_dual_sub_f32 v104, v109, v110 :: v_dual_add_f32 v27, v27, v12
	v_add_f32_e32 v89, v89, v94
	v_fma_f32 v94, -0.5, v97, v1
	v_dual_sub_f32 v97, v108, v111 :: v_dual_fmac_f32 v112, 0x3e9e377a, v28
	v_sub_f32_e32 v113, v22, v14
	s_delay_alu instid0(VALU_DEP_4) | instskip(SKIP_1) | instid1(VALU_DEP_4)
	v_fmac_f32_e32 v107, 0x3e9e377a, v89
	v_dual_fmac_f32 v1, -0.5, v119 :: v_dual_fmac_f32 v6, 0x3e9e377a, v89
	v_fmamk_f32 v28, v97, 0xbf737871, v94
	v_dual_fmac_f32 v94, 0x3f737871, v97 :: v_dual_add_f32 v27, v27, v14
	v_add_f32_e32 v105, v105, v113
	s_delay_alu instid0(VALU_DEP_4) | instskip(NEXT) | instid1(VALU_DEP_4)
	v_fmamk_f32 v89, v104, 0x3f737871, v1
	v_fmac_f32_e32 v28, 0xbf167918, v104
	s_delay_alu instid0(VALU_DEP_4)
	v_dual_fmac_f32 v94, 0x3f167918, v104 :: v_dual_add_f32 v27, v27, v22
	ds_store_2addr_b32 v98, v18, v51 offset0:154 offset1:231
	ds_store_b32 v98, v24 offset:1232
	v_lshl_add_u32 v18, v35, 2, 0
	v_fmac_f32_e32 v28, 0x3e9e377a, v105
	v_dual_fmac_f32 v94, 0x3e9e377a, v105 :: v_dual_add_f32 v105, v109, v110
	v_add_f32_e32 v31, v31, v186
	v_lshl_add_u32 v24, v57, 2, 0
	s_delay_alu instid0(VALU_DEP_3) | instskip(SKIP_4) | instid1(VALU_DEP_3)
	v_fma_f32 v105, -0.5, v105, v7
	v_sub_f32_e32 v113, v12, v21
	v_fmac_f32_e32 v1, 0xbf737871, v104
	v_dual_add_f32 v104, v7, v108 :: v_dual_sub_f32 v21, v21, v22
	v_dual_fmac_f32 v89, 0xbf167918, v97 :: v_dual_sub_f32 v12, v12, v14
	v_fmac_f32_e32 v1, 0x3f167918, v97
	s_delay_alu instid0(VALU_DEP_3) | instskip(SKIP_1) | instid1(VALU_DEP_2)
	v_dual_add_f32 v97, v104, v109 :: v_dual_fmamk_f32 v104, v21, 0x3f737871, v105
	v_sub_f32_e32 v119, v14, v22
	v_add_f32_e32 v14, v97, v110
	s_delay_alu instid0(VALU_DEP_3) | instskip(NEXT) | instid1(VALU_DEP_3)
	v_fmac_f32_e32 v104, 0x3f167918, v12
	v_dual_add_f32 v22, v113, v119 :: v_dual_sub_f32 v97, v111, v110
	s_delay_alu instid0(VALU_DEP_1) | instskip(SKIP_4) | instid1(VALU_DEP_4)
	v_dual_add_f32 v14, v14, v111 :: v_dual_fmac_f32 v89, 0x3e9e377a, v22
	v_dual_fmac_f32 v1, 0x3e9e377a, v22 :: v_dual_sub_f32 v22, v108, v109
	v_add_f32_e32 v113, v108, v111
	v_dual_fmac_f32 v105, 0xbf737871, v21 :: v_dual_sub_f32 v108, v109, v108
	v_sub_f32_e32 v109, v110, v111
	v_add_f32_e32 v22, v22, v97
	s_delay_alu instid0(VALU_DEP_4) | instskip(NEXT) | instid1(VALU_DEP_4)
	v_fmac_f32_e32 v7, -0.5, v113
	v_fmac_f32_e32 v105, 0xbf167918, v12
	s_delay_alu instid0(VALU_DEP_3) | instskip(NEXT) | instid1(VALU_DEP_3)
	v_fmac_f32_e32 v104, 0x3e9e377a, v22
	v_fmamk_f32 v113, v12, 0xbf737871, v7
	v_dual_fmac_f32 v7, 0x3f737871, v12 :: v_dual_add_f32 v12, v108, v109
	s_delay_alu instid0(VALU_DEP_4) | instskip(SKIP_1) | instid1(VALU_DEP_4)
	v_fmac_f32_e32 v105, 0x3e9e377a, v22
	v_mul_u32_u24_e32 v22, 0x604, v36
	v_fmac_f32_e32 v113, 0x3f167918, v21
	s_delay_alu instid0(VALU_DEP_4)
	v_fmac_f32_e32 v7, 0xbf167918, v21
	s_wait_alu 0xf1ff
	v_cndmask_b32_e64 v21, 0, 0x604, s0
	v_add3_u32 v22, 0, v22, v59
	v_fmac_f32_e32 v113, 0x3e9e377a, v12
	v_fmac_f32_e32 v7, 0x3e9e377a, v12
	v_and_b32_e32 v12, 0xffff, v34
	v_add3_u32 v20, 0, v21, v44
	ds_store_2addr_b32 v20, v87, v61 offset1:77
	ds_store_2addr_b32 v20, v72, v55 offset0:154 offset1:231
	ds_store_b32 v20, v23 offset:1232
	v_mul_u32_u24_e32 v12, 0x604, v12
	v_mul_u32_u24_e32 v23, 0x604, v56
	v_add_nc_u32_e32 v21, 0xc00, v18
	s_delay_alu instid0(VALU_DEP_3)
	v_add3_u32 v12, 0, v12, v60
	ds_store_2addr_b32 v12, v62, v73 offset1:77
	ds_store_2addr_b32 v12, v80, v53 offset0:154 offset1:231
	ds_store_b32 v12, v26 offset:1232
	ds_store_2addr_b32 v21, v31, v82 offset0:2 offset1:79
	ds_store_b32 v18, v15 offset:4312
	v_add3_u32 v15, 0, v23, v58
	v_add_nc_u32_e32 v23, 0x1800, v24
	ds_store_2addr_b32 v21, v64, v50 offset0:156 offset1:233
	ds_store_2addr_b32 v22, v63, v74 offset1:77
	ds_store_2addr_b32 v22, v71, v52 offset0:154 offset1:231
	ds_store_b32 v22, v93 offset:1232
	ds_store_2addr_b32 v15, v29, v30 offset1:77
	ds_store_2addr_b32 v15, v81, v0 offset0:154 offset1:231
	ds_store_b32 v15, v103 offset:1232
	ds_store_2addr_b32 v23, v27, v28 offset0:4 offset1:81
	ds_store_2addr_b32 v23, v89, v1 offset0:158 offset1:235
	ds_store_b32 v24, v94 offset:7392
	global_wb scope:SCOPE_SE
	s_wait_dscnt 0x0
	s_barrier_signal -1
	s_barrier_wait -1
	global_inv scope:SCOPE_SE
	ds_load_b32 v80, v98
	ds_load_2addr_b32 v[52:53], v48 offset0:129 offset1:184
	ds_load_2addr_b32 v[50:51], v49 offset0:75 offset1:130
	;; [unrolled: 1-line block ×8, first 2 shown]
	ds_load_b32 v87, v88
	ds_load_2addr_b32 v[66:67], v65 offset0:167 offset1:222
	ds_load_2addr_b32 v[64:65], v68 offset0:169 offset1:224
	ds_load_b32 v82, v85
	ds_load_b32 v81, v84
	;; [unrolled: 1-line block ×3, first 2 shown]
	ds_load_2addr_b32 v[72:73], v69 offset0:93 offset1:148
	ds_load_2addr_b32 v[70:71], v70 offset0:95 offset1:150
	ds_load_2addr_b32 v[68:69], v76 offset0:19 offset1:74
	ds_load_2addr_b32 v[74:75], v75 offset0:21 offset1:76
	ds_load_2addr_b32 v[76:77], v77 offset0:23 offset1:78
	global_wb scope:SCOPE_SE
	s_wait_dscnt 0x0
	s_barrier_signal -1
	s_barrier_wait -1
	global_inv scope:SCOPE_SE
	ds_store_2addr_b32 v98, v17, v5 offset1:77
	ds_store_2addr_b32 v98, v16, v86 offset0:154 offset1:231
	ds_store_b32 v98, v3 offset:1232
	ds_store_2addr_b32 v20, v11, v4 offset1:77
	ds_store_2addr_b32 v20, v8, v83 offset0:154 offset1:231
	ds_store_b32 v20, v19 offset:1232
	;; [unrolled: 3-line block ×3, first 2 shown]
	ds_store_2addr_b32 v21, v95, v91 offset0:2 offset1:79
	ds_store_2addr_b32 v21, v92, v38 offset0:156 offset1:233
	ds_store_b32 v18, v90 offset:4312
	ds_store_2addr_b32 v22, v99, v96 offset1:77
	ds_store_2addr_b32 v22, v102, v39 offset0:154 offset1:231
	ds_store_b32 v22, v100 offset:1232
	ds_store_2addr_b32 v15, v106, v101 offset1:77
	ds_store_2addr_b32 v15, v107, v6 offset0:154 offset1:231
	ds_store_b32 v15, v112 offset:1232
	ds_store_2addr_b32 v23, v14, v104 offset0:4 offset1:81
	ds_store_2addr_b32 v23, v113, v7 offset0:158 offset1:235
	ds_store_b32 v24, v105 offset:7392
	global_wb scope:SCOPE_SE
	s_wait_dscnt 0x0
	s_barrier_signal -1
	s_barrier_wait -1
	global_inv scope:SCOPE_SE
	s_and_saveexec_b32 s0, vcc_lo
	s_cbranch_execz .LBB0_23
; %bb.22:
	v_lshlrev_b32_e32 v44, 2, v33
	v_mul_lo_u32 v86, s3, v42
	v_mul_lo_u32 v99, s2, v43
	v_mad_co_u64_u32 v[42:43], null, s2, v42, 0
	s_delay_alu instid0(VALU_DEP_4) | instskip(SKIP_1) | instid1(VALU_DEP_3)
	v_lshlrev_b64_e32 v[0:1], 3, v[44:45]
	v_lshlrev_b64_e32 v[40:41], 3, v[40:41]
	v_add3_u32 v43, v43, v99, v86
	s_delay_alu instid0(VALU_DEP_3) | instskip(SKIP_1) | instid1(VALU_DEP_4)
	v_add_co_u32 v0, vcc_lo, s8, v0
	s_wait_alu 0xfffd
	v_add_co_ci_u32_e32 v1, vcc_lo, s9, v1, vcc_lo
	s_delay_alu instid0(VALU_DEP_3)
	v_lshlrev_b64_e32 v[42:43], 3, v[42:43]
	s_clause 0x1
	global_load_b128 v[12:15], v[0:1], off offset:3024
	global_load_b128 v[8:11], v[0:1], off offset:3040
	v_lshlrev_b32_e32 v44, 2, v32
	v_add_nc_u32_e32 v100, 0x1c00, v98
	v_add_nc_u32_e32 v101, 0x1600, v98
	;; [unrolled: 1-line block ×4, first 2 shown]
	v_lshlrev_b64_e32 v[0:1], 3, v[44:45]
	v_lshlrev_b32_e32 v44, 2, v118
	s_delay_alu instid0(VALU_DEP_1) | instskip(SKIP_1) | instid1(VALU_DEP_4)
	v_lshlrev_b64_e32 v[16:17], 3, v[44:45]
	v_lshlrev_b32_e32 v44, 2, v117
	v_add_co_u32 v0, vcc_lo, s8, v0
	s_wait_alu 0xfffd
	v_add_co_ci_u32_e32 v1, vcc_lo, s9, v1, vcc_lo
	s_delay_alu instid0(VALU_DEP_3)
	v_lshlrev_b64_e32 v[24:25], 3, v[44:45]
	v_add_co_u32 v16, vcc_lo, s8, v16
	s_wait_alu 0xfffd
	v_add_co_ci_u32_e32 v17, vcc_lo, s9, v17, vcc_lo
	s_clause 0x1
	global_load_b128 v[4:7], v[0:1], off offset:3024
	global_load_b128 v[0:3], v[0:1], off offset:3040
	v_add_co_u32 v24, vcc_lo, s8, v24
	s_wait_alu 0xfffd
	v_add_co_ci_u32_e32 v25, vcc_lo, s9, v25, vcc_lo
	v_lshlrev_b32_e32 v44, 2, v116
	s_clause 0x3
	global_load_b128 v[20:23], v[16:17], off offset:3024
	global_load_b128 v[16:19], v[16:17], off offset:3040
	;; [unrolled: 1-line block ×4, first 2 shown]
	v_add_nc_u32_e32 v79, 0x400, v79
	v_lshlrev_b64_e32 v[24:25], 3, v[44:45]
	v_add_nc_u32_e32 v44, 0xa00, v98
	v_add_nc_u32_e32 v103, 0x1400, v98
	;; [unrolled: 1-line block ×5, first 2 shown]
	v_add_co_u32 v24, vcc_lo, s8, v24
	s_wait_alu 0xfffd
	v_add_co_ci_u32_e32 v25, vcc_lo, s9, v25, vcc_lo
	s_clause 0x1
	global_load_b128 v[28:31], v[24:25], off offset:3024
	global_load_b128 v[24:27], v[24:25], off offset:3040
	ds_load_b32 v88, v88
	s_clause 0x1
	global_load_b128 v[90:93], v[46:47], off offset:3040
	global_load_b128 v[94:97], v[46:47], off offset:3024
	ds_load_b32 v133, v78
	ds_load_b32 v78, v98
	ds_load_2addr_b32 v[107:108], v44 offset0:75 offset1:130
	ds_load_2addr_b32 v[46:47], v83 offset0:21 offset1:76
	v_lshlrev_b32_e32 v44, 2, v115
	s_wait_loadcnt 0xa
	v_mul_f32_e32 v86, v54, v9
	ds_load_2addr_b32 v[109:110], v100 offset0:23 offset1:78
	ds_load_2addr_b32 v[111:112], v101 offset0:77 offset1:132
	ds_load_2addr_b32 v[115:116], v79 offset0:19 offset1:74
	ds_load_2addr_b32 v[117:118], v102 offset0:93 offset1:148
	v_dual_mul_f32 v79, v77, v11 :: v_dual_add_nc_u32 v104, 0xc00, v98
	ds_load_2addr_b32 v[119:120], v103 offset0:95 offset1:150
	ds_load_2addr_b32 v[121:122], v104 offset0:167 offset1:222
	;; [unrolled: 1-line block ×7, first 2 shown]
	s_wait_dscnt 0xa
	v_mul_f32_e32 v11, v110, v11
	s_wait_dscnt 0x9
	v_mul_f32_e32 v9, v111, v9
	s_delay_alu instid0(VALU_DEP_2) | instskip(SKIP_1) | instid1(VALU_DEP_3)
	v_fmac_f32_e32 v11, v77, v10
	v_lshlrev_b64_e32 v[44:45], 3, v[44:45]
	v_fmac_f32_e32 v9, v54, v8
	s_delay_alu instid0(VALU_DEP_2) | instskip(SKIP_1) | instid1(VALU_DEP_3)
	v_add_co_u32 v44, vcc_lo, s8, v44
	s_wait_alu 0xfffd
	v_add_co_ci_u32_e32 v45, vcc_lo, s9, v45, vcc_lo
	s_clause 0x1
	global_load_b128 v[99:102], v[44:45], off offset:3040
	global_load_b128 v[103:106], v[44:45], off offset:3024
	v_dual_mul_f32 v44, v50, v13 :: v_dual_mul_f32 v45, v75, v15
	v_mul_f32_e32 v13, v107, v13
	v_mul_f32_e32 v15, v47, v15
	s_delay_alu instid0(VALU_DEP_3) | instskip(NEXT) | instid1(VALU_DEP_4)
	v_fma_f32 v44, v12, v107, -v44
	v_fma_f32 v45, v14, v47, -v45
	;; [unrolled: 1-line block ×4, first 2 shown]
	v_fmac_f32_e32 v13, v50, v12
	s_wait_loadcnt 0xa
	v_dual_fmac_f32 v15, v75, v14 :: v_dual_mul_f32 v50, v109, v3
	v_mul_f32_e32 v8, v73, v5
	v_mul_f32_e32 v10, v74, v7
	;; [unrolled: 1-line block ×4, first 2 shown]
	s_wait_dscnt 0x7
	v_mul_f32_e32 v5, v118, v5
	s_wait_dscnt 0x6
	v_dual_mul_f32 v54, v46, v7 :: v_dual_mul_f32 v75, v120, v1
	v_sub_f32_e32 v1, v44, v45
	v_sub_f32_e32 v3, v47, v79
	v_dual_add_f32 v7, v45, v79 :: v_dual_sub_f32 v86, v15, v9
	v_dual_sub_f32 v77, v13, v11 :: v_dual_sub_f32 v110, v11, v9
	v_dual_sub_f32 v107, v13, v15 :: v_dual_sub_f32 v138, v15, v13
	v_dual_add_f32 v111, v15, v9 :: v_dual_sub_f32 v134, v45, v79
	v_dual_sub_f32 v113, v44, v47 :: v_dual_fmac_f32 v54, v74, v6
	v_dual_sub_f32 v135, v45, v44 :: v_dual_sub_f32 v136, v79, v47
	v_add_f32_e32 v137, v44, v47
	v_dual_sub_f32 v139, v9, v11 :: v_dual_fmac_f32 v50, v76, v2
	v_dual_add_f32 v140, v13, v11 :: v_dual_fmac_f32 v75, v71, v0
	v_dual_add_f32 v44, v44, v116 :: v_dual_add_f32 v13, v69, v13
	v_fma_f32 v8, v4, v118, -v8
	v_fma_f32 v10, v6, v46, -v10
	s_wait_loadcnt 0x9
	v_mul_f32_e32 v6, v67, v23
	v_fma_f32 v46, v2, v109, -v12
	v_fma_f32 v109, v0, v120, -v14
	v_dual_fmac_f32 v5, v73, v4 :: v_dual_mul_f32 v4, v72, v21
	s_wait_loadcnt 0x8
	v_dual_mul_f32 v12, v65, v19 :: v_dual_mul_f32 v73, v119, v17
	v_mul_f32_e32 v14, v70, v17
	v_dual_mul_f32 v21, v117, v21 :: v_dual_add_f32 v76, v107, v110
	s_wait_dscnt 0x4
	v_mul_f32_e32 v71, v124, v19
	v_dual_mul_f32 v19, v122, v23 :: v_dual_sub_f32 v120, v8, v46
	v_dual_add_f32 v74, v1, v3 :: v_dual_add_f32 v107, v135, v136
	v_fma_f32 v1, -0.5, v7, v116
	v_fma_f32 v0, -0.5, v111, v69
	;; [unrolled: 1-line block ×3, first 2 shown]
	v_dual_add_f32 v110, v138, v139 :: v_dual_add_f32 v17, v45, v44
	v_fma_f32 v2, -0.5, v140, v69
	v_dual_add_f32 v13, v13, v15 :: v_dual_sub_f32 v136, v10, v8
	v_dual_sub_f32 v15, v8, v10 :: v_dual_sub_f32 v116, v50, v75
	v_dual_sub_f32 v23, v46, v109 :: v_dual_add_f32 v138, v8, v46
	v_dual_add_f32 v44, v10, v109 :: v_dual_sub_f32 v45, v5, v50
	v_add_f32_e32 v118, v54, v75
	v_dual_sub_f32 v69, v54, v75 :: v_dual_sub_f32 v140, v75, v50
	v_dual_sub_f32 v111, v5, v54 :: v_dual_add_f32 v8, v8, v115
	v_sub_f32_e32 v135, v10, v109
	v_dual_sub_f32 v137, v109, v46 :: v_dual_add_f32 v142, v68, v5
	v_sub_f32_e32 v139, v54, v5
	v_add_f32_e32 v141, v5, v50
	v_fma_f32 v117, v20, v117, -v4
	v_fma_f32 v122, v22, v122, -v6
	;; [unrolled: 1-line block ×4, first 2 shown]
	v_fmac_f32_e32 v21, v72, v20
	v_dual_fmac_f32 v71, v65, v18 :: v_dual_fmamk_f32 v6, v134, 0xbf737871, v2
	s_wait_loadcnt 0x6
	v_dual_fmac_f32 v19, v67, v22 :: v_dual_mul_f32 v20, v61, v33
	v_dual_fmac_f32 v73, v70, v16 :: v_dual_fmamk_f32 v4, v113, 0x3f737871, v0
	v_mul_f32_e32 v18, v63, v37
	v_mul_f32_e32 v22, v64, v35
	v_dual_mul_f32 v65, v121, v39 :: v_dual_fmac_f32 v2, 0x3f737871, v134
	s_wait_dscnt 0x2
	v_dual_mul_f32 v67, v128, v33 :: v_dual_add_f32 v72, v111, v116
	v_mul_f32_e32 v33, v126, v37
	v_mul_f32_e32 v16, v66, v39
	v_dual_mul_f32 v70, v123, v35 :: v_dual_fmamk_f32 v5, v77, 0xbf737871, v1
	v_fmac_f32_e32 v0, 0xbf737871, v113
	v_fmamk_f32 v7, v86, 0x3f737871, v3
	v_add_f32_e32 v17, v79, v17
	s_delay_alu instid0(VALU_DEP_4)
	v_dual_add_f32 v35, v13, v9 :: v_dual_fmac_f32 v70, v64, v34
	v_fmac_f32_e32 v1, 0x3f737871, v77
	v_add_f32_e32 v37, v15, v23
	v_fma_f32 v15, -0.5, v44, v115
	v_fma_f32 v14, -0.5, v118, v68
	v_add_f32_e32 v79, v136, v137
	v_fma_f32 v13, -0.5, v138, v115
	v_dual_add_f32 v111, v139, v140 :: v_dual_sub_f32 v144, v73, v71
	v_fma_f32 v12, -0.5, v141, v68
	v_dual_add_f32 v23, v10, v8 :: v_dual_sub_f32 v116, v19, v73
	v_dual_add_f32 v39, v142, v54 :: v_dual_sub_f32 v136, v71, v73
	v_sub_f32_e32 v44, v117, v122
	v_dual_sub_f32 v54, v124, v119 :: v_dual_add_f32 v137, v19, v73
	v_dual_sub_f32 v138, v117, v124 :: v_dual_sub_f32 v139, v122, v119
	v_add_f32_e32 v146, v89, v21
	v_dual_sub_f32 v140, v122, v117 :: v_dual_sub_f32 v141, v119, v124
	v_add_f32_e32 v142, v117, v124
	v_dual_add_f32 v145, v21, v71 :: v_dual_fmac_f32 v6, 0x3f167918, v113
	v_add_f32_e32 v117, v117, v133
	v_fma_f32 v18, v36, v126, -v18
	v_fma_f32 v123, v34, v123, -v22
	v_fmac_f32_e32 v65, v66, v38
	v_dual_fmac_f32 v67, v61, v32 :: v_dual_fmac_f32 v2, 0xbf167918, v113
	v_dual_fmac_f32 v33, v63, v36 :: v_dual_fmac_f32 v0, 0xbf167918, v134
	v_dual_fmac_f32 v3, 0xbf737871, v86 :: v_dual_add_f32 v68, v122, v119
	v_sub_f32_e32 v115, v21, v71
	v_dual_sub_f32 v118, v21, v19 :: v_dual_sub_f32 v143, v19, v21
	v_fmac_f32_e32 v4, 0x3f167918, v134
	v_fma_f32 v121, v38, v121, -v16
	v_fma_f32 v126, v32, v128, -v20
	s_wait_loadcnt 0x5
	v_mul_f32_e32 v32, v62, v29
	v_mul_f32_e32 v34, v57, v31
	s_wait_loadcnt 0x4
	v_mul_f32_e32 v36, v59, v27
	v_mul_f32_e32 v38, v60, v25
	s_wait_dscnt 0x0
	v_dual_mul_f32 v128, v125, v29 :: v_dual_mul_f32 v147, v132, v27
	v_fmamk_f32 v16, v135, 0xbf737871, v12
	v_dual_fmac_f32 v5, 0xbf167918, v86 :: v_dual_add_f32 v8, v11, v35
	v_dual_fmac_f32 v7, 0xbf167918, v77 :: v_dual_add_f32 v54, v44, v54
	v_dual_add_f32 v9, v47, v17 :: v_dual_fmamk_f32 v10, v120, 0x3f737871, v14
	v_dual_fmac_f32 v1, 0x3f167918, v86 :: v_dual_add_f32 v66, v140, v141
	v_dual_fmamk_f32 v11, v45, 0xbf737871, v15 :: v_dual_fmac_f32 v14, 0xbf737871, v120
	v_dual_fmamk_f32 v17, v69, 0x3f737871, v13 :: v_dual_fmac_f32 v12, 0x3f737871, v135
	v_dual_fmac_f32 v13, 0xbf737871, v69 :: v_dual_add_f32 v44, v146, v19
	v_dual_fmac_f32 v15, 0x3f737871, v45 :: v_dual_add_f32 v64, v18, v123
	v_add_f32_e32 v27, v109, v23
	v_dual_add_f32 v29, v39, v75 :: v_dual_sub_f32 v86, v65, v33
	v_fma_f32 v22, -0.5, v137, v89
	v_fma_f32 v21, -0.5, v142, v133
	;; [unrolled: 1-line block ×3, first 2 shown]
	v_dual_add_f32 v39, v122, v117 :: v_dual_fmac_f32 v4, 0x3e9e377a, v76
	v_dual_add_f32 v137, v65, v67 :: v_dual_fmac_f32 v2, 0x3e9e377a, v110
	v_add_f32_e32 v141, v87, v33
	v_fma_f32 v23, -0.5, v68, v133
	v_dual_add_f32 v61, v118, v136 :: v_dual_sub_f32 v122, v123, v126
	v_dual_sub_f32 v47, v121, v18 :: v_dual_sub_f32 v136, v70, v67
	v_dual_sub_f32 v63, v126, v123 :: v_dual_sub_f32 v134, v33, v65
	v_dual_sub_f32 v75, v65, v67 :: v_dual_add_f32 v140, v18, v88
	v_dual_sub_f32 v89, v67, v70 :: v_dual_fmac_f32 v10, 0x3f167918, v135
	v_dual_sub_f32 v109, v18, v123 :: v_dual_fmac_f32 v6, 0x3e9e377a, v110
	v_dual_add_f32 v113, v33, v70 :: v_dual_fmac_f32 v16, 0x3f167918, v120
	v_dual_sub_f32 v118, v18, v121 :: v_dual_add_f32 v133, v121, v126
	v_fmac_f32_e32 v14, 0xbf167918, v135
	v_fma_f32 v125, v28, v125, -v32
	v_fma_f32 v142, v30, v130, -v34
	v_dual_fmac_f32 v5, 0x3e9e377a, v74 :: v_dual_add_f32 v18, v50, v29
	v_dual_add_f32 v19, v46, v27 :: v_dual_fmamk_f32 v34, v139, 0xbf737871, v20
	v_dual_fmamk_f32 v32, v138, 0x3f737871, v22 :: v_dual_fmamk_f32 v35, v116, 0x3f737871, v21
	v_fmac_f32_e32 v20, 0x3f737871, v139
	v_dual_add_f32 v27, v119, v39 :: v_dual_fmac_f32 v10, 0x3e9e377a, v72
	v_dual_add_f32 v29, v44, v73 :: v_dual_fmac_f32 v16, 0x3e9e377a, v111
	v_fma_f32 v39, -0.5, v64, v88
	v_fma_f32 v44, -0.5, v137, v87
	v_dual_add_f32 v65, v65, v141 :: v_dual_fmac_f32 v20, 0xbf167918, v138
	v_dual_fmac_f32 v3, 0x3f167918, v77 :: v_dual_add_f32 v68, v143, v144
	v_dual_sub_f32 v77, v33, v70 :: v_dual_fmac_f32 v0, 0x3e9e377a, v76
	v_dual_sub_f32 v117, v121, v126 :: v_dual_fmac_f32 v12, 0xbf167918, v120
	v_fma_f32 v132, v26, v132, -v36
	v_fma_f32 v143, v24, v127, -v38
	v_dual_fmac_f32 v1, 0x3e9e377a, v74 :: v_dual_add_f32 v50, v47, v63
	v_fmac_f32_e32 v11, 0xbf167918, v69
	v_fmac_f32_e32 v17, 0xbf167918, v45
	v_dual_fmac_f32 v13, 0x3f167918, v45 :: v_dual_fmac_f32 v32, 0x3f167918, v139
	v_dual_fmac_f32 v15, 0x3f167918, v69 :: v_dual_fmac_f32 v34, 0x3f167918, v138
	v_dual_fmamk_f32 v33, v115, 0xbf737871, v23 :: v_dual_fmac_f32 v22, 0xbf737871, v138
	v_dual_fmac_f32 v21, 0xbf737871, v116 :: v_dual_add_f32 v36, v71, v29
	v_fma_f32 v38, -0.5, v113, v87
	v_fmac_f32_e32 v23, 0x3f737871, v115
	v_fma_f32 v45, -0.5, v133, v88
	v_fmamk_f32 v47, v75, 0x3f737871, v39
	v_fmamk_f32 v63, v109, 0xbf737871, v44
	v_dual_fmac_f32 v39, 0xbf737871, v75 :: v_dual_fmac_f32 v128, v62, v28
	v_dual_fmac_f32 v44, 0x3f737871, v109 :: v_dual_add_f32 v29, v65, v67
	v_mul_f32_e32 v67, v127, v25
	v_dual_add_f32 v69, v86, v89 :: v_dual_fmac_f32 v12, 0x3e9e377a, v111
	v_dual_sub_f32 v86, v125, v142 :: v_dual_sub_f32 v87, v132, v143
	v_fmamk_f32 v46, v117, 0xbf737871, v38
	v_dual_fmac_f32 v11, 0x3e9e377a, v37 :: v_dual_fmac_f32 v34, 0x3e9e377a, v68
	v_fmac_f32_e32 v15, 0x3e9e377a, v37
	v_dual_fmac_f32 v33, 0xbf167918, v116 :: v_dual_fmac_f32 v22, 0xbf167918, v139
	v_dual_add_f32 v37, v124, v27 :: v_dual_fmamk_f32 v64, v77, 0x3f737871, v45
	v_fmac_f32_e32 v38, 0x3f737871, v117
	v_fmac_f32_e32 v23, 0x3f167918, v116
	;; [unrolled: 1-line block ×5, first 2 shown]
	v_dual_fmac_f32 v3, 0x3e9e377a, v107 :: v_dual_add_f32 v76, v121, v140
	v_dual_fmac_f32 v21, 0x3f167918, v115 :: v_dual_fmac_f32 v46, 0x3f167918, v109
	v_fmac_f32_e32 v33, 0x3e9e377a, v54
	v_fmac_f32_e32 v64, 0x3f167918, v75
	;; [unrolled: 1-line block ×3, first 2 shown]
	ds_load_b32 v54, v85
	ds_load_b32 v71, v84
	v_fmac_f32_e32 v147, v59, v26
	v_fmac_f32_e32 v47, 0x3e9e377a, v50
	v_dual_fmac_f32 v39, 0x3e9e377a, v50 :: v_dual_mul_f32 v50, v130, v31
	v_dual_fmac_f32 v35, 0xbf167918, v115 :: v_dual_fmac_f32 v38, 0xbf167918, v109
	v_dual_add_f32 v27, v126, v76 :: v_dual_fmac_f32 v22, 0x3e9e377a, v61
	s_delay_alu instid0(VALU_DEP_3) | instskip(SKIP_1) | instid1(VALU_DEP_4)
	v_dual_fmac_f32 v45, 0xbf737871, v77 :: v_dual_fmac_f32 v50, v57, v30
	v_dual_add_f32 v73, v118, v122 :: v_dual_fmac_f32 v14, 0x3e9e377a, v72
	v_fmac_f32_e32 v35, 0x3e9e377a, v66
	v_dual_fmac_f32 v21, 0x3e9e377a, v66 :: v_dual_fmac_f32 v38, 0x3e9e377a, v69
	s_delay_alu instid0(VALU_DEP_4)
	v_dual_fmac_f32 v63, 0xbf167918, v117 :: v_dual_sub_f32 v26, v128, v50
	v_add_f32_e32 v66, v123, v27
	v_add_f32_e32 v24, v50, v67
	v_sub_f32_e32 v27, v147, v67
	v_dual_fmac_f32 v45, 0xbf167918, v75 :: v_dual_add_f32 v30, v125, v132
	v_dual_fmac_f32 v44, 0x3f167918, v117 :: v_dual_add_f32 v65, v29, v70
	s_delay_alu instid0(VALU_DEP_3)
	v_add_f32_e32 v72, v26, v27
	v_fma_f32 v28, -0.5, v24, v82
	v_sub_f32_e32 v70, v125, v132
	v_add_f32_e32 v26, v128, v147
	v_dual_fmac_f32 v7, 0x3e9e377a, v107 :: v_dual_add_f32 v74, v134, v136
	v_add_f32_e32 v88, v142, v143
	v_fmac_f32_e32 v64, 0x3e9e377a, v73
	v_fmac_f32_e32 v45, 0x3e9e377a, v73
	v_fmamk_f32 v24, v70, 0x3f737871, v28
	v_fmac_f32_e32 v44, 0x3e9e377a, v74
	s_wait_dscnt 0x1
	v_fma_f32 v31, -0.5, v30, v54
	v_sub_f32_e32 v73, v142, v143
	v_fma_f32 v30, -0.5, v26, v82
	v_dual_fmac_f32 v17, 0x3e9e377a, v79 :: v_dual_fmac_f32 v32, 0x3e9e377a, v61
	v_fma_f32 v29, -0.5, v88, v54
	v_dual_add_f32 v54, v125, v54 :: v_dual_sub_f32 v61, v50, v128
	s_delay_alu instid0(VALU_DEP_4) | instskip(SKIP_3) | instid1(VALU_DEP_4)
	v_fmamk_f32 v26, v73, 0xbf737871, v30
	v_fmac_f32_e32 v24, 0x3f167918, v73
	v_sub_f32_e32 v62, v67, v147
	v_dual_fmac_f32 v46, 0x3e9e377a, v69 :: v_dual_sub_f32 v69, v50, v67
	v_fmac_f32_e32 v26, 0x3f167918, v70
	v_dual_fmac_f32 v63, 0x3e9e377a, v74 :: v_dual_sub_f32 v60, v143, v132
	s_delay_alu instid0(VALU_DEP_4) | instskip(SKIP_3) | instid1(VALU_DEP_4)
	v_add_f32_e32 v75, v61, v62
	v_sub_f32_e32 v59, v142, v125
	v_dual_fmamk_f32 v27, v69, 0x3f737871, v31 :: v_dual_fmac_f32 v30, 0x3f737871, v73
	v_add_nc_u32_e32 v61, 0x400, v98
	v_fmac_f32_e32 v26, 0x3e9e377a, v75
	s_delay_alu instid0(VALU_DEP_4)
	v_dual_sub_f32 v57, v128, v147 :: v_dual_add_f32 v74, v59, v60
	v_fmac_f32_e32 v28, 0xbf737871, v70
	v_fmac_f32_e32 v30, 0xbf167918, v70
	s_wait_loadcnt 0x0
	v_mul_f32_e32 v70, v53, v104
	v_fmamk_f32 v25, v57, 0xbf737871, v29
	ds_load_2addr_b32 v[59:60], v83 offset0:131 offset1:186
	ds_load_2addr_b32 v[61:62], v61 offset0:129 offset1:184
	v_dual_fmac_f32 v27, 0xbf167918, v57 :: v_dual_add_f32 v54, v142, v54
	v_fmac_f32_e32 v31, 0xbf737871, v69
	v_fmac_f32_e32 v25, 0xbf167918, v69
	v_dual_fmac_f32 v13, 0x3e9e377a, v79 :: v_dual_fmac_f32 v20, 0x3e9e377a, v68
	v_dual_add_f32 v68, v86, v87 :: v_dual_fmac_f32 v29, 0x3f737871, v57
	v_fmac_f32_e32 v28, 0xbf167918, v73
	v_dual_add_f32 v54, v143, v54 :: v_dual_fmac_f32 v31, 0x3f167918, v57
	v_dual_mul_f32 v57, v56, v106 :: v_dual_fmac_f32 v24, 0x3e9e377a, v72
	s_delay_alu instid0(VALU_DEP_3) | instskip(SKIP_1) | instid1(VALU_DEP_3)
	v_dual_fmac_f32 v27, 0x3e9e377a, v74 :: v_dual_fmac_f32 v28, 0x3e9e377a, v72
	v_dual_fmac_f32 v25, 0x3e9e377a, v68 :: v_dual_fmac_f32 v30, 0x3e9e377a, v75
	v_fma_f32 v72, v105, v129, -v57
	s_wait_dscnt 0x0
	v_dual_fmac_f32 v31, 0x3e9e377a, v74 :: v_dual_mul_f32 v74, v62, v104
	v_fmac_f32_e32 v29, 0x3f167918, v69
	v_mul_f32_e32 v75, v131, v102
	v_fma_f32 v62, v103, v62, -v70
	v_add_f32_e32 v54, v132, v54
	s_delay_alu instid0(VALU_DEP_3) | instskip(NEXT) | instid1(VALU_DEP_3)
	v_dual_fmac_f32 v74, v53, v103 :: v_dual_fmac_f32 v75, v58, v101
	v_sub_f32_e32 v53, v62, v72
	v_mul_f32_e32 v57, v58, v102
	v_dual_mul_f32 v58, v129, v106 :: v_dual_fmac_f32 v29, 0x3e9e377a, v68
	v_mul_f32_e32 v68, v49, v100
	v_sub_f32_e32 v86, v72, v62
	s_delay_alu instid0(VALU_DEP_4) | instskip(NEXT) | instid1(VALU_DEP_4)
	v_fma_f32 v76, v101, v131, -v57
	v_fmac_f32_e32 v58, v56, v105
	s_delay_alu instid0(VALU_DEP_4) | instskip(SKIP_2) | instid1(VALU_DEP_3)
	v_fma_f32 v73, v99, v60, -v68
	v_add_f32_e32 v69, v82, v128
	v_mul_f32_e32 v60, v60, v100
	v_sub_f32_e32 v56, v76, v73
	v_add_f32_e32 v68, v72, v73
	s_delay_alu instid0(VALU_DEP_3) | instskip(SKIP_1) | instid1(VALU_DEP_4)
	v_fmac_f32_e32 v60, v49, v99
	v_sub_f32_e32 v87, v73, v76
	v_add_f32_e32 v82, v53, v56
	s_delay_alu instid0(VALU_DEP_4) | instskip(SKIP_4) | instid1(VALU_DEP_4)
	v_fma_f32 v57, -0.5, v68, v71
	v_sub_f32_e32 v77, v74, v75
	v_sub_f32_e32 v79, v58, v60
	v_dual_add_f32 v49, v69, v50 :: v_dual_sub_f32 v88, v60, v75
	v_sub_f32_e32 v84, v75, v60
	v_fmamk_f32 v50, v77, 0xbf737871, v57
	s_delay_alu instid0(VALU_DEP_1) | instskip(NEXT) | instid1(VALU_DEP_4)
	v_fmac_f32_e32 v50, 0xbf167918, v79
	v_add_f32_e32 v49, v49, v67
	s_delay_alu instid0(VALU_DEP_2) | instskip(SKIP_1) | instid1(VALU_DEP_2)
	v_dual_add_f32 v67, v58, v60 :: v_dual_fmac_f32 v50, 0x3e9e377a, v82
	v_fmac_f32_e32 v57, 0x3f737871, v77
	v_fma_f32 v56, -0.5, v67, v81
	v_add_f32_e32 v67, v62, v76
	s_delay_alu instid0(VALU_DEP_1) | instskip(NEXT) | instid1(VALU_DEP_1)
	v_fma_f32 v68, -0.5, v67, v71
	v_dual_sub_f32 v69, v74, v58 :: v_dual_fmamk_f32 v70, v79, 0x3f737871, v68
	v_dual_fmac_f32 v68, 0xbf737871, v79 :: v_dual_sub_f32 v83, v62, v76
	v_add_f32_e32 v62, v62, v71
	v_add_f32_e32 v67, v74, v75
	s_delay_alu instid0(VALU_DEP_4)
	v_dual_add_f32 v53, v147, v49 :: v_dual_add_f32 v84, v69, v84
	v_add_f32_e32 v86, v86, v87
	v_fmac_f32_e32 v70, 0xbf167918, v77
	v_fmamk_f32 v49, v83, 0x3f737871, v56
	v_sub_f32_e32 v85, v72, v73
	v_add_f32_e32 v62, v72, v62
	v_fma_f32 v67, -0.5, v67, v81
	v_fmac_f32_e32 v70, 0x3e9e377a, v86
	v_dual_sub_f32 v87, v58, v74 :: v_dual_fmac_f32 v68, 0x3f167918, v77
	v_dual_fmac_f32 v49, 0x3f167918, v85 :: v_dual_add_f32 v72, v81, v74
	s_delay_alu instid0(VALU_DEP_4) | instskip(NEXT) | instid1(VALU_DEP_3)
	v_fmamk_f32 v69, v85, 0xbf737871, v67
	v_dual_add_f32 v71, v87, v88 :: v_dual_fmac_f32 v68, 0x3e9e377a, v86
	s_delay_alu instid0(VALU_DEP_3) | instskip(NEXT) | instid1(VALU_DEP_3)
	v_dual_fmac_f32 v49, 0x3e9e377a, v84 :: v_dual_add_f32 v62, v73, v62
	v_dual_add_f32 v58, v72, v58 :: v_dual_fmac_f32 v69, 0x3f167918, v83
	v_fmac_f32_e32 v67, 0x3f737871, v85
	v_mul_f32_e32 v86, v108, v97
	s_delay_alu instid0(VALU_DEP_4) | instskip(NEXT) | instid1(VALU_DEP_4)
	v_add_f32_e32 v72, v76, v62
	v_dual_add_f32 v58, v58, v60 :: v_dual_fmac_f32 v69, 0x3e9e377a, v71
	v_mul_f32_e32 v60, v51, v97
	v_mul_f32_e32 v62, v48, v91
	v_fmac_f32_e32 v67, 0xbf167918, v83
	v_fmac_f32_e32 v56, 0xbf737871, v83
	;; [unrolled: 1-line block ×3, first 2 shown]
	v_fma_f32 v77, v96, v108, -v60
	v_fma_f32 v62, v90, v59, -v62
	v_fmac_f32_e32 v57, 0x3f167918, v79
	v_fmac_f32_e32 v67, 0x3e9e377a, v71
	v_add_f32_e32 v71, v75, v58
	v_mul_f32_e32 v58, v55, v93
	v_add_f32_e32 v60, v77, v62
	v_dual_fmac_f32 v57, 0x3e9e377a, v82 :: v_dual_mul_f32 v82, v112, v93
	v_dual_mul_f32 v73, v52, v95 :: v_dual_fmac_f32 v56, 0xbf167918, v85
	v_mul_hi_u32 v76, 0x551c979b, v114
	s_delay_alu instid0(VALU_DEP_3) | instskip(NEXT) | instid1(VALU_DEP_3)
	v_fmac_f32_e32 v82, v55, v92
	v_fma_f32 v79, v94, v61, -v73
	v_mul_f32_e32 v81, v61, v95
	v_fma_f32 v55, v92, v112, -v58
	v_dual_fmac_f32 v56, 0x3e9e377a, v84 :: v_dual_sub_f32 v89, v77, v62
	s_delay_alu instid0(VALU_DEP_3)
	v_dual_sub_f32 v58, v79, v77 :: v_dual_fmac_f32 v81, v52, v94
	v_mul_f32_e32 v87, v59, v91
	v_fma_f32 v52, -0.5, v60, v78
	v_sub_f32_e32 v60, v55, v62
	v_sub_f32_e32 v85, v79, v55
	v_sub_f32_e32 v73, v77, v79
	v_fmac_f32_e32 v87, v48, v90
	v_sub_f32_e32 v48, v81, v82
	v_add_f32_e32 v88, v58, v60
	v_sub_f32_e32 v60, v81, v86
	s_delay_alu instid0(VALU_DEP_4) | instskip(NEXT) | instid1(VALU_DEP_4)
	v_dual_add_f32 v74, v81, v82 :: v_dual_add_f32 v51, v86, v87
	v_fmamk_f32 v59, v48, 0xbf737871, v52
	v_sub_f32_e32 v83, v86, v87
	v_lshrrev_b32_e32 v76, 7, v76
	v_dual_sub_f32 v84, v86, v81 :: v_dual_sub_f32 v91, v87, v82
	v_fma_f32 v51, -0.5, v51, v80
	v_sub_f32_e32 v61, v82, v87
	s_delay_alu instid0(VALU_DEP_4)
	v_mul_u32_u24_e32 v76, 0x181, v76
	v_fmac_f32_e32 v52, 0x3f737871, v48
	v_add_f32_e32 v84, v84, v91
	v_fmamk_f32 v58, v85, 0x3f737871, v51
	v_dual_fmac_f32 v59, 0xbf167918, v83 :: v_dual_add_f32 v90, v60, v61
	v_add_f32_e32 v60, v79, v55
	v_sub_nc_u32_e32 v91, v114, v76
	s_delay_alu instid0(VALU_DEP_4) | instskip(NEXT) | instid1(VALU_DEP_4)
	v_fmac_f32_e32 v58, 0x3f167918, v89
	v_fmac_f32_e32 v59, 0x3e9e377a, v88
	v_sub_f32_e32 v75, v62, v55
	v_fma_f32 v61, -0.5, v60, v78
	v_fma_f32 v60, -0.5, v74, v80
	v_fmac_f32_e32 v58, 0x3e9e377a, v90
	v_fmac_f32_e32 v51, 0xbf737871, v85
	s_delay_alu instid0(VALU_DEP_4) | instskip(SKIP_3) | instid1(VALU_DEP_4)
	v_dual_add_f32 v75, v73, v75 :: v_dual_fmamk_f32 v74, v83, 0x3f737871, v61
	v_fmac_f32_e32 v61, 0xbf737871, v83
	v_fmamk_f32 v73, v89, 0xbf737871, v60
	v_fmac_f32_e32 v52, 0x3f167918, v83
	v_dual_fmac_f32 v51, 0xbf167918, v89 :: v_dual_fmac_f32 v74, 0xbf167918, v48
	s_delay_alu instid0(VALU_DEP_4) | instskip(SKIP_3) | instid1(VALU_DEP_4)
	v_dual_fmac_f32 v61, 0x3f167918, v48 :: v_dual_add_f32 v48, v79, v78
	v_add_f32_e32 v78, v80, v81
	v_fmac_f32_e32 v60, 0x3f737871, v89
	v_fmac_f32_e32 v73, 0x3f167918, v85
	v_dual_fmac_f32 v74, 0x3e9e377a, v75 :: v_dual_add_f32 v77, v77, v48
	s_delay_alu instid0(VALU_DEP_4) | instskip(NEXT) | instid1(VALU_DEP_4)
	v_add_f32_e32 v78, v78, v86
	v_fmac_f32_e32 v60, 0xbf167918, v85
	v_fmac_f32_e32 v61, 0x3e9e377a, v75
	v_mad_co_u64_u32 v[75:76], null, s16, v91, 0
	v_dual_add_f32 v62, v62, v77 :: v_dual_fmac_f32 v51, 0x3e9e377a, v90
	s_delay_alu instid0(VALU_DEP_2) | instskip(NEXT) | instid1(VALU_DEP_1)
	v_dual_fmac_f32 v73, 0x3e9e377a, v84 :: v_dual_mov_b32 v48, v76
	v_mad_co_u64_u32 v[76:77], null, s17, v91, v[48:49]
	v_add_nc_u32_e32 v48, 0x181, v91
	s_delay_alu instid0(VALU_DEP_4) | instskip(SKIP_1) | instid1(VALU_DEP_3)
	v_dual_add_f32 v77, v78, v87 :: v_dual_add_f32 v78, v55, v62
	v_add_co_u32 v55, vcc_lo, s6, v42
	v_mad_co_u64_u32 v[79:80], null, s16, v48, 0
	s_wait_alu 0xfffd
	v_add_co_ci_u32_e32 v43, vcc_lo, s7, v43, vcc_lo
	s_delay_alu instid0(VALU_DEP_3)
	v_add_co_u32 v40, vcc_lo, v55, v40
	v_add_nc_u32_e32 v55, 0x302, v91
	v_dual_fmac_f32 v52, 0x3e9e377a, v88 :: v_dual_add_f32 v77, v82, v77
	v_mov_b32_e32 v42, v80
	s_wait_alu 0xfffd
	v_add_co_ci_u32_e32 v41, vcc_lo, v43, v41, vcc_lo
	v_mad_co_u64_u32 v[81:82], null, s16, v55, 0
	s_delay_alu instid0(VALU_DEP_3) | instskip(SKIP_4) | instid1(VALU_DEP_4)
	v_mad_co_u64_u32 v[42:43], null, s17, v48, v[42:43]
	v_add_nc_u32_e32 v48, 0x483, v91
	v_add_nc_u32_e32 v62, 55, v114
	v_lshlrev_b64_e32 v[75:76], 3, v[75:76]
	v_dual_mov_b32 v43, v82 :: v_dual_fmac_f32 v60, 0x3e9e377a, v84
	v_mad_co_u64_u32 v[83:84], null, s16, v48, 0
	s_delay_alu instid0(VALU_DEP_4)
	v_mul_hi_u32 v85, 0x551c979b, v62
	v_mov_b32_e32 v80, v42
	v_add_co_u32 v75, vcc_lo, v40, v75
	s_wait_alu 0xfffd
	v_add_co_ci_u32_e32 v76, vcc_lo, v41, v76, vcc_lo
	v_mov_b32_e32 v42, v84
	v_lshrrev_b32_e32 v86, 7, v85
	v_mad_co_u64_u32 v[84:85], null, s17, v55, v[43:44]
	s_delay_alu instid0(VALU_DEP_3) | instskip(NEXT) | instid1(VALU_DEP_3)
	v_mad_co_u64_u32 v[42:43], null, s17, v48, v[42:43]
	v_mul_u32_u24_e32 v43, 0x181, v86
	v_add_nc_u32_e32 v48, 0x604, v91
	global_store_b64 v[75:76], v[77:78], off
	v_lshlrev_b64_e32 v[75:76], 3, v[79:80]
	v_sub_nc_u32_e32 v55, v62, v43
	s_delay_alu instid0(VALU_DEP_2) | instskip(NEXT) | instid1(VALU_DEP_2)
	v_add_co_u32 v75, vcc_lo, v40, v75
	v_mad_u32_u24 v55, 0x785, v86, v55
	v_mov_b32_e32 v82, v84
	v_mov_b32_e32 v84, v42
	v_mad_co_u64_u32 v[42:43], null, s16, v48, 0
	s_wait_alu 0xfffd
	v_add_co_ci_u32_e32 v76, vcc_lo, v41, v76, vcc_lo
	v_lshlrev_b64_e32 v[77:78], 3, v[81:82]
	v_mad_co_u64_u32 v[81:82], null, s16, v55, 0
	v_lshlrev_b64_e32 v[79:80], 3, v[83:84]
	v_mad_co_u64_u32 v[83:84], null, s17, v48, v[43:44]
	s_delay_alu instid0(VALU_DEP_4)
	v_add_co_u32 v77, vcc_lo, v40, v77
	s_wait_alu 0xfffd
	v_add_co_ci_u32_e32 v78, vcc_lo, v41, v78, vcc_lo
	v_mov_b32_e32 v43, v82
	v_add_co_u32 v79, vcc_lo, v40, v79
	s_wait_alu 0xfffd
	v_add_co_ci_u32_e32 v80, vcc_lo, v41, v80, vcc_lo
	s_delay_alu instid0(VALU_DEP_3)
	v_mad_co_u64_u32 v[84:85], null, s17, v55, v[43:44]
	s_clause 0x2
	global_store_b64 v[75:76], v[51:52], off
	global_store_b64 v[77:78], v[60:61], off
	;; [unrolled: 1-line block ×3, first 2 shown]
	v_add_nc_u32_e32 v73, 0x181, v55
	v_add_nc_u32_e32 v75, 0x302, v55
	;; [unrolled: 1-line block ×3, first 2 shown]
	v_dual_mov_b32 v43, v83 :: v_dual_add_nc_u32 v80, 0x483, v55
	s_delay_alu instid0(VALU_DEP_4) | instskip(NEXT) | instid1(VALU_DEP_4)
	v_mad_co_u64_u32 v[51:52], null, s16, v73, 0
	v_mad_co_u64_u32 v[60:61], null, s16, v75, 0
	s_delay_alu instid0(VALU_DEP_4)
	v_mul_hi_u32 v76, 0x551c979b, v79
	v_mov_b32_e32 v82, v84
	v_lshlrev_b64_e32 v[42:43], 3, v[42:43]
	v_mad_co_u64_u32 v[77:78], null, s16, v80, 0
	v_mov_b32_e32 v48, v52
	v_mov_b32_e32 v52, v61
	v_lshlrev_b64_e32 v[61:62], 3, v[81:82]
	v_lshrrev_b32_e32 v81, 7, v76
	v_add_co_u32 v42, vcc_lo, v40, v42
	s_wait_alu 0xfffd
	v_add_co_ci_u32_e32 v43, vcc_lo, v41, v43, vcc_lo
	v_mad_co_u64_u32 v[73:74], null, s17, v73, v[48:49]
	v_mul_u32_u24_e32 v48, 0x181, v81
	v_mad_co_u64_u32 v[74:75], null, s17, v75, v[52:53]
	global_store_b64 v[42:43], v[58:59], off
	v_add_co_u32 v75, vcc_lo, v40, v61
	v_sub_nc_u32_e32 v58, v79, v48
	v_mov_b32_e32 v48, v78
	v_dual_mov_b32 v52, v73 :: v_dual_mov_b32 v61, v74
	v_add_nc_u32_e32 v73, 0x604, v55
	s_delay_alu instid0(VALU_DEP_4) | instskip(NEXT) | instid1(VALU_DEP_4)
	v_mad_u32_u24 v79, 0x785, v81, v58
	v_mad_co_u64_u32 v[58:59], null, s17, v80, v[48:49]
	s_delay_alu instid0(VALU_DEP_4)
	v_lshlrev_b64_e32 v[42:43], 3, v[51:52]
	v_lshlrev_b64_e32 v[51:52], 3, v[60:61]
	v_mad_co_u64_u32 v[59:60], null, s16, v73, 0
	s_wait_alu 0xfffd
	v_add_co_ci_u32_e32 v76, vcc_lo, v41, v62, vcc_lo
	v_mad_co_u64_u32 v[61:62], null, s16, v79, 0
	v_add_co_u32 v42, vcc_lo, v40, v42
	s_delay_alu instid0(VALU_DEP_4)
	v_mov_b32_e32 v48, v60
	global_store_b64 v[75:76], v[71:72], off
	s_wait_alu 0xfffd
	v_add_co_ci_u32_e32 v43, vcc_lo, v41, v43, vcc_lo
	v_mov_b32_e32 v55, v62
	v_mad_co_u64_u32 v[73:74], null, s17, v73, v[48:49]
	v_add_co_u32 v51, vcc_lo, v40, v51
	s_delay_alu instid0(VALU_DEP_3)
	v_mad_co_u64_u32 v[74:75], null, s17, v79, v[55:56]
	v_add_nc_u32_e32 v55, 0x181, v79
	s_wait_alu 0xfffd
	v_add_co_ci_u32_e32 v52, vcc_lo, v41, v52, vcc_lo
	global_store_b64 v[42:43], v[56:57], off
	v_mov_b32_e32 v60, v73
	v_mad_co_u64_u32 v[75:76], null, s16, v55, 0
	global_store_b64 v[51:52], v[67:68], off
	v_dual_mov_b32 v78, v58 :: v_dual_add_nc_u32 v67, 0xa5, v114
	v_lshlrev_b64_e32 v[42:43], 3, v[59:60]
	v_add_nc_u32_e32 v58, 0x302, v79
	v_mov_b32_e32 v62, v74
	v_mov_b32_e32 v48, v76
	v_mul_hi_u32 v59, 0x551c979b, v67
	v_lshlrev_b64_e32 v[71:72], 3, v[77:78]
	s_delay_alu instid0(VALU_DEP_4) | instskip(NEXT) | instid1(VALU_DEP_4)
	v_lshlrev_b64_e32 v[51:52], 3, v[61:62]
	v_mad_co_u64_u32 v[55:56], null, s17, v55, v[48:49]
	v_mad_co_u64_u32 v[56:57], null, s16, v58, 0
	v_lshrrev_b32_e32 v60, 7, v59
	v_add_co_u32 v71, vcc_lo, v40, v71
	s_wait_alu 0xfffd
	v_add_co_ci_u32_e32 v72, vcc_lo, v41, v72, vcc_lo
	s_delay_alu instid0(VALU_DEP_3) | instskip(SKIP_3) | instid1(VALU_DEP_3)
	v_mul_u32_u24_e32 v61, 0x181, v60
	v_mov_b32_e32 v48, v57
	v_dual_mov_b32 v76, v55 :: v_dual_add_nc_u32 v55, 0x483, v79
	v_add_co_u32 v42, vcc_lo, v40, v42
	v_mad_co_u64_u32 v[57:58], null, s17, v58, v[48:49]
	v_sub_nc_u32_e32 v48, v67, v61
	s_wait_alu 0xfffd
	v_add_co_ci_u32_e32 v43, vcc_lo, v41, v43, vcc_lo
	v_add_co_u32 v51, vcc_lo, v40, v51
	v_mad_co_u64_u32 v[58:59], null, s16, v55, 0
	v_add_nc_u32_e32 v61, 0x604, v79
	s_wait_alu 0xfffd
	v_add_co_ci_u32_e32 v52, vcc_lo, v41, v52, vcc_lo
	v_mad_u32_u24 v60, 0x785, v60, v48
	s_clause 0x1
	global_store_b64 v[71:72], v[69:70], off
	global_store_b64 v[42:43], v[49:50], off
	v_mad_co_u64_u32 v[49:50], null, s16, v61, 0
	global_store_b64 v[51:52], v[53:54], off
	v_mad_co_u64_u32 v[51:52], null, s16, v60, 0
	v_mov_b32_e32 v48, v59
	v_lshlrev_b64_e32 v[42:43], 3, v[75:76]
	s_delay_alu instid0(VALU_DEP_2)
	v_mad_co_u64_u32 v[53:54], null, s17, v55, v[48:49]
	v_mov_b32_e32 v48, v50
	v_mov_b32_e32 v50, v52
	v_lshlrev_b64_e32 v[54:55], 3, v[56:57]
	v_add_co_u32 v42, vcc_lo, v40, v42
	s_wait_alu 0xfffd
	v_add_co_ci_u32_e32 v43, vcc_lo, v41, v43, vcc_lo
	v_mad_co_u64_u32 v[56:57], null, s17, v60, v[50:51]
	v_mov_b32_e32 v59, v53
	v_mad_co_u64_u32 v[52:53], null, s17, v61, v[48:49]
	v_add_nc_u32_e32 v57, 0x181, v60
	v_add_co_u32 v53, vcc_lo, v40, v54
	s_wait_alu 0xfffd
	v_add_co_ci_u32_e32 v54, vcc_lo, v41, v55, vcc_lo
	global_store_b64 v[42:43], v[28:29], off
	v_mad_co_u64_u32 v[42:43], null, s16, v57, 0
	global_store_b64 v[53:54], v[30:31], off
	v_mov_b32_e32 v50, v52
	v_mov_b32_e32 v52, v56
	v_add_nc_u32_e32 v54, 0x302, v60
	v_lshlrev_b64_e32 v[28:29], 3, v[58:59]
	v_dual_mov_b32 v30, v43 :: v_dual_add_nc_u32 v59, 0x483, v60
	v_lshlrev_b64_e32 v[48:49], 3, v[49:50]
	v_lshlrev_b64_e32 v[50:51], 3, v[51:52]
	v_mad_co_u64_u32 v[52:53], null, s16, v54, 0
	s_delay_alu instid0(VALU_DEP_4) | instskip(SKIP_3) | instid1(VALU_DEP_4)
	v_mad_co_u64_u32 v[30:31], null, s17, v57, v[30:31]
	v_add_co_u32 v28, vcc_lo, v40, v28
	s_wait_alu 0xfffd
	v_add_co_ci_u32_e32 v29, vcc_lo, v41, v29, vcc_lo
	v_dual_mov_b32 v31, v53 :: v_dual_add_nc_u32 v58, 0xdc, v114
	s_delay_alu instid0(VALU_DEP_4) | instskip(SKIP_1) | instid1(VALU_DEP_3)
	v_mov_b32_e32 v43, v30
	v_add_co_u32 v48, vcc_lo, v40, v48
	v_mad_co_u64_u32 v[30:31], null, s17, v54, v[31:32]
	v_add_nc_u32_e32 v31, 0x604, v60
	v_mad_co_u64_u32 v[54:55], null, s16, v59, 0
	s_wait_alu 0xfffd
	v_add_co_ci_u32_e32 v49, vcc_lo, v41, v49, vcc_lo
	s_delay_alu instid0(VALU_DEP_3)
	v_mad_co_u64_u32 v[56:57], null, s16, v31, 0
	v_add_co_u32 v50, vcc_lo, v40, v50
	v_mul_hi_u32 v53, 0x551c979b, v58
	s_wait_alu 0xfffd
	v_add_co_ci_u32_e32 v51, vcc_lo, v41, v51, vcc_lo
	s_clause 0x2
	global_store_b64 v[28:29], v[26:27], off
	global_store_b64 v[48:49], v[24:25], off
	global_store_b64 v[50:51], v[65:66], off
	v_dual_mov_b32 v26, v55 :: v_dual_mov_b32 v27, v57
	v_lshlrev_b64_e32 v[24:25], 3, v[42:43]
	v_lshrrev_b32_e32 v48, 7, v53
	v_mov_b32_e32 v53, v30
	s_delay_alu instid0(VALU_DEP_4) | instskip(NEXT) | instid1(VALU_DEP_3)
	v_mad_co_u64_u32 v[28:29], null, s17, v59, v[26:27]
	v_mul_u32_u24_e32 v30, 0x181, v48
	v_add_co_u32 v24, vcc_lo, v40, v24
	s_wait_alu 0xfffd
	v_add_co_ci_u32_e32 v25, vcc_lo, v41, v25, vcc_lo
	s_delay_alu instid0(VALU_DEP_4) | instskip(SKIP_3) | instid1(VALU_DEP_3)
	v_mad_co_u64_u32 v[26:27], null, s17, v31, v[27:28]
	v_sub_nc_u32_e32 v27, v58, v30
	v_lshlrev_b64_e32 v[29:30], 3, v[52:53]
	v_mov_b32_e32 v55, v28
	v_mad_u32_u24 v58, 0x785, v48, v27
	v_mov_b32_e32 v57, v26
	s_delay_alu instid0(VALU_DEP_4)
	v_add_co_u32 v28, vcc_lo, v40, v29
	s_wait_alu 0xfffd
	v_add_co_ci_u32_e32 v29, vcc_lo, v41, v30, vcc_lo
	v_add_nc_u32_e32 v52, 0x181, v58
	v_mad_co_u64_u32 v[26:27], null, s16, v58, 0
	v_lshlrev_b64_e32 v[30:31], 3, v[54:55]
	v_lshlrev_b64_e32 v[42:43], 3, v[56:57]
	s_delay_alu instid0(VALU_DEP_4) | instskip(NEXT) | instid1(VALU_DEP_4)
	v_mad_co_u64_u32 v[48:49], null, s16, v52, 0
	v_mad_co_u64_u32 v[50:51], null, s17, v58, v[27:28]
	s_delay_alu instid0(VALU_DEP_4) | instskip(SKIP_2) | instid1(VALU_DEP_4)
	v_add_co_u32 v30, vcc_lo, v40, v30
	s_wait_alu 0xfffd
	v_add_co_ci_u32_e32 v31, vcc_lo, v41, v31, vcc_lo
	v_mov_b32_e32 v27, v49
	v_add_co_u32 v42, vcc_lo, v40, v42
	s_wait_alu 0xfffd
	v_add_co_ci_u32_e32 v43, vcc_lo, v41, v43, vcc_lo
	s_delay_alu instid0(VALU_DEP_3)
	v_mad_co_u64_u32 v[51:52], null, s17, v52, v[27:28]
	v_mov_b32_e32 v27, v50
	s_clause 0x3
	global_store_b64 v[24:25], v[63:64], off
	global_store_b64 v[28:29], v[38:39], off
	;; [unrolled: 1-line block ×4, first 2 shown]
	v_add_nc_u32_e32 v38, 0x302, v58
	v_add_nc_u32_e32 v44, 0x483, v58
	;; [unrolled: 1-line block ×3, first 2 shown]
	v_lshlrev_b64_e32 v[24:25], 3, v[26:27]
	v_mov_b32_e32 v49, v51
	v_mad_co_u64_u32 v[26:27], null, s16, v38, 0
	v_mad_co_u64_u32 v[28:29], null, s16, v44, 0
	v_mul_hi_u32 v39, 0x551c979b, v46
	s_delay_alu instid0(VALU_DEP_4) | instskip(SKIP_4) | instid1(VALU_DEP_3)
	v_lshlrev_b64_e32 v[30:31], 3, v[48:49]
	v_add_nc_u32_e32 v47, 0x604, v58
	v_add_co_u32 v24, vcc_lo, v40, v24
	s_wait_alu 0xfffd
	v_add_co_ci_u32_e32 v25, vcc_lo, v41, v25, vcc_lo
	v_mad_co_u64_u32 v[42:43], null, s16, v47, 0
	v_lshrrev_b32_e32 v48, 7, v39
	v_mad_co_u64_u32 v[38:39], null, s17, v38, v[27:28]
	v_mov_b32_e32 v27, v29
	v_add_co_u32 v29, vcc_lo, v40, v30
	s_delay_alu instid0(VALU_DEP_4)
	v_mul_u32_u24_e32 v39, 0x181, v48
	s_wait_alu 0xfffd
	v_add_co_ci_u32_e32 v30, vcc_lo, v41, v31, vcc_lo
	v_mad_co_u64_u32 v[44:45], null, s17, v44, v[27:28]
	v_mov_b32_e32 v27, v38
	s_clause 0x1
	global_store_b64 v[24:25], v[36:37], off
	global_store_b64 v[29:30], v[22:23], off
	v_sub_nc_u32_e32 v31, v46, v39
	v_mov_b32_e32 v22, v43
	v_lshlrev_b64_e32 v[23:24], 3, v[26:27]
	v_mov_b32_e32 v29, v44
	s_delay_alu instid0(VALU_DEP_4) | instskip(NEXT) | instid1(VALU_DEP_3)
	v_mad_u32_u24 v38, 0x785, v48, v31
	v_mad_co_u64_u32 v[25:26], null, s17, v47, v[22:23]
	s_delay_alu instid0(VALU_DEP_2) | instskip(NEXT) | instid1(VALU_DEP_4)
	v_mad_co_u64_u32 v[26:27], null, s16, v38, 0
	v_lshlrev_b64_e32 v[28:29], 3, v[28:29]
	v_add_co_u32 v22, vcc_lo, v40, v23
	s_wait_alu 0xfffd
	v_add_co_ci_u32_e32 v23, vcc_lo, v41, v24, vcc_lo
	v_mov_b32_e32 v43, v25
	v_dual_mov_b32 v24, v27 :: v_dual_add_nc_u32 v39, 0x181, v38
	v_add_co_u32 v27, vcc_lo, v40, v28
	s_delay_alu instid0(VALU_DEP_3)
	v_lshlrev_b64_e32 v[36:37], 3, v[42:43]
	s_wait_alu 0xfffd
	v_add_co_ci_u32_e32 v28, vcc_lo, v41, v29, vcc_lo
	v_mad_co_u64_u32 v[30:31], null, s16, v39, 0
	v_mad_co_u64_u32 v[24:25], null, s17, v38, v[24:25]
	s_clause 0x1
	global_store_b64 v[22:23], v[20:21], off
	global_store_b64 v[27:28], v[34:35], off
	v_add_co_u32 v21, vcc_lo, v40, v36
	s_wait_alu 0xfffd
	v_add_co_ci_u32_e32 v22, vcc_lo, v41, v37, vcc_lo
	v_dual_mov_b32 v20, v31 :: v_dual_mov_b32 v27, v24
	v_add_nc_u32_e32 v34, 0x302, v38
	global_store_b64 v[21:22], v[32:33], off
	v_add_nc_u32_e32 v32, 0x483, v38
	v_mad_co_u64_u32 v[23:24], null, s17, v39, v[20:21]
	v_lshlrev_b64_e32 v[20:21], 3, v[26:27]
	v_mad_co_u64_u32 v[24:25], null, s16, v34, 0
	s_delay_alu instid0(VALU_DEP_4)
	v_mad_co_u64_u32 v[26:27], null, s16, v32, 0
	v_add_nc_u32_e32 v33, 0x14a, v114
	v_mov_b32_e32 v31, v23
	v_add_co_u32 v20, vcc_lo, v40, v20
	v_mov_b32_e32 v22, v25
	s_wait_alu 0xfffd
	v_add_co_ci_u32_e32 v21, vcc_lo, v41, v21, vcc_lo
	v_mov_b32_e32 v23, v27
	v_lshlrev_b64_e32 v[28:29], 3, v[30:31]
	global_store_b64 v[20:21], v[18:19], off
	v_mad_co_u64_u32 v[30:31], null, s17, v34, v[22:23]
	v_add_nc_u32_e32 v34, 0x604, v38
	v_mad_co_u64_u32 v[22:23], null, s17, v32, v[23:24]
	v_mul_hi_u32 v23, 0x551c979b, v33
	v_add_co_u32 v28, vcc_lo, v40, v28
	s_delay_alu instid0(VALU_DEP_4)
	v_mad_co_u64_u32 v[31:32], null, s16, v34, 0
	s_wait_alu 0xfffd
	v_add_co_ci_u32_e32 v29, vcc_lo, v41, v29, vcc_lo
	v_mov_b32_e32 v25, v30
	v_lshrrev_b32_e32 v23, 7, v23
	v_mov_b32_e32 v27, v22
	global_store_b64 v[28:29], v[14:15], off
	v_mov_b32_e32 v14, v32
	v_lshlrev_b64_e32 v[18:19], 3, v[24:25]
	v_mul_u32_u24_e32 v22, 0x181, v23
	v_lshlrev_b64_e32 v[20:21], 3, v[26:27]
	s_delay_alu instid0(VALU_DEP_4) | instskip(NEXT) | instid1(VALU_DEP_3)
	v_mad_co_u64_u32 v[14:15], null, s17, v34, v[14:15]
	v_sub_nc_u32_e32 v15, v33, v22
	v_add_co_u32 v18, vcc_lo, v40, v18
	s_wait_alu 0xfffd
	v_add_co_ci_u32_e32 v19, vcc_lo, v41, v19, vcc_lo
	s_delay_alu instid0(VALU_DEP_3) | instskip(SKIP_3) | instid1(VALU_DEP_3)
	v_mad_u32_u24 v24, 0x785, v23, v15
	v_add_co_u32 v20, vcc_lo, v40, v20
	s_wait_alu 0xfffd
	v_add_co_ci_u32_e32 v21, vcc_lo, v41, v21, vcc_lo
	v_add_nc_u32_e32 v22, 0x181, v24
	v_dual_mov_b32 v32, v14 :: v_dual_add_nc_u32 v25, 0x302, v24
	v_mad_co_u64_u32 v[14:15], null, s16, v24, 0
	s_clause 0x1
	global_store_b64 v[18:19], v[12:13], off
	global_store_b64 v[20:21], v[16:17], off
	v_mad_co_u64_u32 v[16:17], null, s16, v22, 0
	v_mad_co_u64_u32 v[18:19], null, s16, v25, 0
	v_lshlrev_b64_e32 v[12:13], 3, v[31:32]
	v_add_nc_u32_e32 v27, 0x483, v24
	v_add_nc_u32_e32 v28, 0x604, v24
	v_mad_co_u64_u32 v[20:21], null, s17, v24, v[15:16]
	v_mov_b32_e32 v15, v19
	v_mad_co_u64_u32 v[21:22], null, s17, v22, v[17:18]
	v_add_co_u32 v12, vcc_lo, v40, v12
	v_mad_co_u64_u32 v[22:23], null, s16, v27, 0
	s_wait_alu 0xfffd
	v_add_co_ci_u32_e32 v13, vcc_lo, v41, v13, vcc_lo
	v_mad_co_u64_u32 v[24:25], null, s17, v25, v[15:16]
	v_mov_b32_e32 v15, v20
	v_mad_co_u64_u32 v[25:26], null, s16, v28, 0
	global_store_b64 v[12:13], v[10:11], off
	v_mov_b32_e32 v10, v23
	v_lshlrev_b64_e32 v[11:12], 3, v[14:15]
	v_mov_b32_e32 v17, v21
	v_mov_b32_e32 v19, v24
	s_delay_alu instid0(VALU_DEP_3)
	v_mad_co_u64_u32 v[13:14], null, s17, v27, v[10:11]
	v_mov_b32_e32 v10, v26
	v_add_co_u32 v11, vcc_lo, v40, v11
	v_lshlrev_b64_e32 v[14:15], 3, v[16:17]
	s_wait_alu 0xfffd
	v_add_co_ci_u32_e32 v12, vcc_lo, v41, v12, vcc_lo
	v_mov_b32_e32 v23, v13
	v_mad_co_u64_u32 v[16:17], null, s17, v28, v[10:11]
	v_lshlrev_b64_e32 v[17:18], 3, v[18:19]
	v_add_co_u32 v13, vcc_lo, v40, v14
	s_wait_alu 0xfffd
	v_add_co_ci_u32_e32 v14, vcc_lo, v41, v15, vcc_lo
	v_lshlrev_b64_e32 v[19:20], 3, v[22:23]
	v_mov_b32_e32 v26, v16
	v_add_co_u32 v15, vcc_lo, v40, v17
	s_wait_alu 0xfffd
	v_add_co_ci_u32_e32 v16, vcc_lo, v41, v18, vcc_lo
	s_delay_alu instid0(VALU_DEP_3) | instskip(SKIP_3) | instid1(VALU_DEP_3)
	v_lshlrev_b64_e32 v[17:18], 3, v[25:26]
	v_add_co_u32 v19, vcc_lo, v40, v19
	s_wait_alu 0xfffd
	v_add_co_ci_u32_e32 v20, vcc_lo, v41, v20, vcc_lo
	v_add_co_u32 v17, vcc_lo, v40, v17
	s_wait_alu 0xfffd
	v_add_co_ci_u32_e32 v18, vcc_lo, v41, v18, vcc_lo
	s_clause 0x4
	global_store_b64 v[11:12], v[8:9], off
	global_store_b64 v[13:14], v[0:1], off
	;; [unrolled: 1-line block ×5, first 2 shown]
.LBB0_23:
	s_nop 0
	s_sendmsg sendmsg(MSG_DEALLOC_VGPRS)
	s_endpgm
	.section	.rodata,"a",@progbits
	.p2align	6, 0x0
	.amdhsa_kernel fft_rtc_back_len1925_factors_7_11_5_5_wgs_55_tpt_55_halfLds_sp_op_CI_CI_sbrr_dirReg
		.amdhsa_group_segment_fixed_size 0
		.amdhsa_private_segment_fixed_size 0
		.amdhsa_kernarg_size 104
		.amdhsa_user_sgpr_count 2
		.amdhsa_user_sgpr_dispatch_ptr 0
		.amdhsa_user_sgpr_queue_ptr 0
		.amdhsa_user_sgpr_kernarg_segment_ptr 1
		.amdhsa_user_sgpr_dispatch_id 0
		.amdhsa_user_sgpr_private_segment_size 0
		.amdhsa_wavefront_size32 1
		.amdhsa_uses_dynamic_stack 0
		.amdhsa_enable_private_segment 0
		.amdhsa_system_sgpr_workgroup_id_x 1
		.amdhsa_system_sgpr_workgroup_id_y 0
		.amdhsa_system_sgpr_workgroup_id_z 0
		.amdhsa_system_sgpr_workgroup_info 0
		.amdhsa_system_vgpr_workitem_id 0
		.amdhsa_next_free_vgpr 207
		.amdhsa_next_free_sgpr 43
		.amdhsa_reserve_vcc 1
		.amdhsa_float_round_mode_32 0
		.amdhsa_float_round_mode_16_64 0
		.amdhsa_float_denorm_mode_32 3
		.amdhsa_float_denorm_mode_16_64 3
		.amdhsa_fp16_overflow 0
		.amdhsa_workgroup_processor_mode 1
		.amdhsa_memory_ordered 1
		.amdhsa_forward_progress 0
		.amdhsa_round_robin_scheduling 0
		.amdhsa_exception_fp_ieee_invalid_op 0
		.amdhsa_exception_fp_denorm_src 0
		.amdhsa_exception_fp_ieee_div_zero 0
		.amdhsa_exception_fp_ieee_overflow 0
		.amdhsa_exception_fp_ieee_underflow 0
		.amdhsa_exception_fp_ieee_inexact 0
		.amdhsa_exception_int_div_zero 0
	.end_amdhsa_kernel
	.text
.Lfunc_end0:
	.size	fft_rtc_back_len1925_factors_7_11_5_5_wgs_55_tpt_55_halfLds_sp_op_CI_CI_sbrr_dirReg, .Lfunc_end0-fft_rtc_back_len1925_factors_7_11_5_5_wgs_55_tpt_55_halfLds_sp_op_CI_CI_sbrr_dirReg
                                        ; -- End function
	.section	.AMDGPU.csdata,"",@progbits
; Kernel info:
; codeLenInByte = 29360
; NumSgprs: 45
; NumVgprs: 207
; ScratchSize: 0
; MemoryBound: 0
; FloatMode: 240
; IeeeMode: 1
; LDSByteSize: 0 bytes/workgroup (compile time only)
; SGPRBlocks: 5
; VGPRBlocks: 25
; NumSGPRsForWavesPerEU: 45
; NumVGPRsForWavesPerEU: 207
; Occupancy: 7
; WaveLimiterHint : 1
; COMPUTE_PGM_RSRC2:SCRATCH_EN: 0
; COMPUTE_PGM_RSRC2:USER_SGPR: 2
; COMPUTE_PGM_RSRC2:TRAP_HANDLER: 0
; COMPUTE_PGM_RSRC2:TGID_X_EN: 1
; COMPUTE_PGM_RSRC2:TGID_Y_EN: 0
; COMPUTE_PGM_RSRC2:TGID_Z_EN: 0
; COMPUTE_PGM_RSRC2:TIDIG_COMP_CNT: 0
	.text
	.p2alignl 7, 3214868480
	.fill 96, 4, 3214868480
	.type	__hip_cuid_2a76d070daa3fd92,@object ; @__hip_cuid_2a76d070daa3fd92
	.section	.bss,"aw",@nobits
	.globl	__hip_cuid_2a76d070daa3fd92
__hip_cuid_2a76d070daa3fd92:
	.byte	0                               ; 0x0
	.size	__hip_cuid_2a76d070daa3fd92, 1

	.ident	"AMD clang version 19.0.0git (https://github.com/RadeonOpenCompute/llvm-project roc-6.4.0 25133 c7fe45cf4b819c5991fe208aaa96edf142730f1d)"
	.section	".note.GNU-stack","",@progbits
	.addrsig
	.addrsig_sym __hip_cuid_2a76d070daa3fd92
	.amdgpu_metadata
---
amdhsa.kernels:
  - .args:
      - .actual_access:  read_only
        .address_space:  global
        .offset:         0
        .size:           8
        .value_kind:     global_buffer
      - .offset:         8
        .size:           8
        .value_kind:     by_value
      - .actual_access:  read_only
        .address_space:  global
        .offset:         16
        .size:           8
        .value_kind:     global_buffer
      - .actual_access:  read_only
        .address_space:  global
        .offset:         24
        .size:           8
        .value_kind:     global_buffer
      - .actual_access:  read_only
        .address_space:  global
        .offset:         32
        .size:           8
        .value_kind:     global_buffer
      - .offset:         40
        .size:           8
        .value_kind:     by_value
      - .actual_access:  read_only
        .address_space:  global
        .offset:         48
        .size:           8
        .value_kind:     global_buffer
      - .actual_access:  read_only
        .address_space:  global
        .offset:         56
        .size:           8
        .value_kind:     global_buffer
      - .offset:         64
        .size:           4
        .value_kind:     by_value
      - .actual_access:  read_only
        .address_space:  global
        .offset:         72
        .size:           8
        .value_kind:     global_buffer
      - .actual_access:  read_only
        .address_space:  global
        .offset:         80
        .size:           8
        .value_kind:     global_buffer
      - .actual_access:  read_only
        .address_space:  global
        .offset:         88
        .size:           8
        .value_kind:     global_buffer
      - .actual_access:  write_only
        .address_space:  global
        .offset:         96
        .size:           8
        .value_kind:     global_buffer
    .group_segment_fixed_size: 0
    .kernarg_segment_align: 8
    .kernarg_segment_size: 104
    .language:       OpenCL C
    .language_version:
      - 2
      - 0
    .max_flat_workgroup_size: 55
    .name:           fft_rtc_back_len1925_factors_7_11_5_5_wgs_55_tpt_55_halfLds_sp_op_CI_CI_sbrr_dirReg
    .private_segment_fixed_size: 0
    .sgpr_count:     45
    .sgpr_spill_count: 0
    .symbol:         fft_rtc_back_len1925_factors_7_11_5_5_wgs_55_tpt_55_halfLds_sp_op_CI_CI_sbrr_dirReg.kd
    .uniform_work_group_size: 1
    .uses_dynamic_stack: false
    .vgpr_count:     207
    .vgpr_spill_count: 0
    .wavefront_size: 32
    .workgroup_processor_mode: 1
amdhsa.target:   amdgcn-amd-amdhsa--gfx1201
amdhsa.version:
  - 1
  - 2
...

	.end_amdgpu_metadata
